;; amdgpu-corpus repo=ROCm/rocFFT kind=compiled arch=gfx1201 opt=O3
	.text
	.amdgcn_target "amdgcn-amd-amdhsa--gfx1201"
	.amdhsa_code_object_version 6
	.protected	bluestein_single_back_len1408_dim1_half_op_CI_CI ; -- Begin function bluestein_single_back_len1408_dim1_half_op_CI_CI
	.globl	bluestein_single_back_len1408_dim1_half_op_CI_CI
	.p2align	8
	.type	bluestein_single_back_len1408_dim1_half_op_CI_CI,@function
bluestein_single_back_len1408_dim1_half_op_CI_CI: ; @bluestein_single_back_len1408_dim1_half_op_CI_CI
; %bb.0:
	s_load_b128 s[16:19], s[0:1], 0x28
	v_mul_u32_u24_e32 v1, 0x175, v0
	s_mov_b32 s2, exec_lo
	v_mov_b32_e32 v9, 0
	s_delay_alu instid0(VALU_DEP_2) | instskip(NEXT) | instid1(VALU_DEP_1)
	v_lshrrev_b32_e32 v1, 16, v1
	v_add_nc_u32_e32 v8, ttmp9, v1
	s_wait_kmcnt 0x0
	s_delay_alu instid0(VALU_DEP_1)
	v_cmpx_gt_u64_e64 s[16:17], v[8:9]
	s_cbranch_execz .LBB0_10
; %bb.1:
	s_clause 0x1
	s_load_b128 s[4:7], s[0:1], 0x18
	s_load_b128 s[8:11], s[0:1], 0x0
	v_mul_lo_u16 v1, 0xb0, v1
	s_movk_i32 s2, 0xf7c0
	s_mov_b32 s3, -1
	s_load_b64 s[0:1], s[0:1], 0x38
                                        ; implicit-def: $vgpr112
                                        ; implicit-def: $vgpr113
                                        ; implicit-def: $vgpr110
                                        ; implicit-def: $vgpr114
	s_delay_alu instid0(VALU_DEP_1) | instskip(NEXT) | instid1(VALU_DEP_1)
	v_sub_nc_u16 v0, v0, v1
	v_and_b32_e32 v32, 0xffff, v0
	s_delay_alu instid0(VALU_DEP_1)
	v_lshlrev_b32_e32 v48, 3, v32
	v_add_nc_u32_e32 v78, 0xb0, v32
	v_add_nc_u32_e32 v77, 0x210, v32
	s_wait_kmcnt 0x0
	s_load_b128 s[12:15], s[4:5], 0x0
	v_lshlrev_b32_e32 v39, 2, v32
	s_clause 0x2
	global_load_b32 v36, v39, s[8:9]
	global_load_b32 v34, v39, s[8:9] offset:704
	global_load_b32 v29, v39, s[8:9] offset:1408
	v_add_nc_u32_e32 v13, 0xd00, v39
	s_wait_kmcnt 0x0
	v_mad_co_u64_u32 v[1:2], null, s14, v8, 0
	v_mad_co_u64_u32 v[3:4], null, s12, v32, 0
	s_mul_u64 s[4:5], s[12:13], 0xb00
	s_mul_u64 s[2:3], s[12:13], s[2:3]
	s_delay_alu instid0(VALU_DEP_1) | instskip(NEXT) | instid1(VALU_DEP_1)
	v_mad_co_u64_u32 v[5:6], null, s15, v8, v[2:3]
	v_mad_co_u64_u32 v[6:7], null, s13, v32, v[4:5]
	v_mov_b32_e32 v2, v5
	s_delay_alu instid0(VALU_DEP_1) | instskip(NEXT) | instid1(VALU_DEP_3)
	v_lshlrev_b64_e32 v[1:2], 2, v[1:2]
	v_mov_b32_e32 v4, v6
	s_delay_alu instid0(VALU_DEP_2) | instskip(NEXT) | instid1(VALU_DEP_2)
	v_add_co_u32 v1, vcc_lo, s18, v1
	v_lshlrev_b64_e32 v[3:4], 2, v[3:4]
	s_delay_alu instid0(VALU_DEP_4) | instskip(NEXT) | instid1(VALU_DEP_2)
	v_add_co_ci_u32_e32 v2, vcc_lo, s19, v2, vcc_lo
	v_add_co_u32 v1, vcc_lo, v1, v3
	s_wait_alu 0xfffd
	s_delay_alu instid0(VALU_DEP_2)
	v_add_co_ci_u32_e32 v2, vcc_lo, v2, v4, vcc_lo
	s_clause 0x4
	global_load_b32 v35, v39, s[8:9] offset:2816
	global_load_b32 v31, v39, s[8:9] offset:3520
	;; [unrolled: 1-line block ×5, first 2 shown]
	global_load_b32 v5, v[1:2], off
	v_add_co_u32 v3, vcc_lo, v1, s4
	s_wait_alu 0xfffd
	v_add_co_ci_u32_e32 v4, vcc_lo, s5, v2, vcc_lo
	s_delay_alu instid0(VALU_DEP_2) | instskip(SKIP_1) | instid1(VALU_DEP_2)
	v_add_co_u32 v1, vcc_lo, v3, s2
	s_wait_alu 0xfffd
	v_add_co_ci_u32_e32 v2, vcc_lo, s3, v4, vcc_lo
	s_clause 0x1
	global_load_b32 v6, v[3:4], off
	global_load_b32 v7, v[1:2], off
	v_add_co_u32 v3, vcc_lo, v1, s4
	s_wait_alu 0xfffd
	v_add_co_ci_u32_e32 v4, vcc_lo, s5, v2, vcc_lo
	s_delay_alu instid0(VALU_DEP_2) | instskip(SKIP_1) | instid1(VALU_DEP_2)
	v_add_co_u32 v1, vcc_lo, v3, s2
	s_wait_alu 0xfffd
	v_add_co_ci_u32_e32 v2, vcc_lo, s3, v4, vcc_lo
	s_clause 0x1
	global_load_b32 v9, v[3:4], off
	global_load_b32 v10, v[1:2], off
	v_add_co_u32 v3, vcc_lo, v1, s4
	s_wait_alu 0xfffd
	v_add_co_ci_u32_e32 v4, vcc_lo, s5, v2, vcc_lo
	s_delay_alu instid0(VALU_DEP_2) | instskip(SKIP_1) | instid1(VALU_DEP_2)
	v_add_co_u32 v1, vcc_lo, v3, s2
	s_wait_alu 0xfffd
	v_add_co_ci_u32_e32 v2, vcc_lo, s3, v4, vcc_lo
	global_load_b32 v11, v[3:4], off
	v_add_co_u32 v3, vcc_lo, v1, s4
	s_wait_alu 0xfffd
	v_add_co_ci_u32_e32 v4, vcc_lo, s5, v2, vcc_lo
	global_load_b32 v12, v[1:2], off
	global_load_b32 v4, v[3:4], off
	v_add_nc_u32_e32 v3, 0xa00, v39
	v_add_nc_u32_e32 v1, 0x500, v39
	;; [unrolled: 1-line block ×3, first 2 shown]
	s_load_b128 s[4:7], s[6:7], 0x0
	v_cmp_gt_u16_e32 vcc_lo, 0x80, v0
	s_wait_loadcnt 0xf
	v_lshrrev_b32_e32 v40, 16, v36
	s_wait_loadcnt 0xe
	v_lshrrev_b32_e32 v37, 16, v34
	;; [unrolled: 2-line block ×9, first 2 shown]
	v_mul_f16_e32 v15, v40, v5
	s_delay_alu instid0(VALU_DEP_2) | instskip(NEXT) | instid1(VALU_DEP_2)
	v_mul_f16_e32 v16, v40, v14
	v_fma_f16 v14, v36, v14, -v15
	s_wait_loadcnt 0x6
	v_lshrrev_b32_e32 v17, 16, v6
	s_delay_alu instid0(VALU_DEP_3)
	v_fmac_f16_e32 v16, v36, v5
	v_mul_f16_e32 v15, v38, v6
	s_wait_loadcnt 0x5
	v_lshrrev_b32_e32 v18, 16, v7
	v_mul_f16_e32 v19, v37, v7
	v_mul_f16_e32 v5, v38, v17
	v_pack_b32_f16 v14, v16, v14
	v_fma_f16 v15, v35, v17, -v15
	s_delay_alu instid0(VALU_DEP_4) | instskip(NEXT) | instid1(VALU_DEP_4)
	v_fma_f16 v16, v34, v18, -v19
	v_fmac_f16_e32 v5, v35, v6
	v_mul_f16_e32 v6, v37, v18
	s_wait_loadcnt 0x4
	v_lshrrev_b32_e32 v17, 16, v9
	v_mul_f16_e32 v18, v33, v9
	v_pack_b32_f16 v5, v5, v15
	v_fmac_f16_e32 v6, v34, v7
	s_wait_loadcnt 0x3
	v_lshrrev_b32_e32 v7, 16, v10
	v_mul_f16_e32 v15, v33, v17
	v_fma_f16 v17, v31, v17, -v18
	v_mul_f16_e32 v18, v30, v10
	v_pack_b32_f16 v6, v6, v16
	v_mul_f16_e32 v16, v30, v7
	v_fmac_f16_e32 v15, v31, v9
	s_delay_alu instid0(VALU_DEP_4) | instskip(SKIP_4) | instid1(VALU_DEP_3)
	v_fma_f16 v7, v29, v7, -v18
	s_wait_loadcnt 0x2
	v_lshrrev_b32_e32 v9, 16, v11
	v_mul_f16_e32 v18, v28, v11
	v_fmac_f16_e32 v16, v29, v10
	v_mul_f16_e32 v19, v28, v9
	s_wait_loadcnt 0x1
	v_lshrrev_b32_e32 v10, 16, v12
	s_wait_loadcnt 0x0
	v_lshrrev_b32_e32 v20, 16, v4
	v_fma_f16 v9, v27, v9, -v18
	v_mul_f16_e32 v18, v26, v12
	v_mul_f16_e32 v22, v24, v4
	;; [unrolled: 1-line block ×4, first 2 shown]
	v_fmac_f16_e32 v19, v27, v11
	v_fma_f16 v10, v25, v10, -v18
	v_fma_f16 v11, v23, v20, -v22
	v_fmac_f16_e32 v21, v25, v12
	v_fmac_f16_e32 v41, v23, v4
	v_pack_b32_f16 v4, v15, v17
	v_pack_b32_f16 v9, v19, v9
	;; [unrolled: 1-line block ×5, first 2 shown]
	ds_store_b32 v39, v5 offset:2816
	ds_store_2addr_b32 v39, v14, v6 offset1:176
	ds_store_2addr_b32 v13, v4, v9 offset0:48 offset1:224
	ds_store_2addr_b32 v1, v7, v10 offset0:32 offset1:208
	ds_store_b32 v39, v11 offset:4928
	global_wb scope:SCOPE_SE
	s_wait_dscnt 0x0
	s_wait_kmcnt 0x0
	s_barrier_signal -1
	s_barrier_wait -1
	global_inv scope:SCOPE_SE
	ds_load_2addr_b32 v[5:6], v39 offset1:176
	ds_load_2addr_b32 v[9:10], v3 offset0:64 offset1:240
	ds_load_2addr_b32 v[11:12], v1 offset0:32 offset1:208
	;; [unrolled: 1-line block ×3, first 2 shown]
	v_and_b32_e32 v17, 1, v32
	v_lshlrev_b32_e32 v4, 1, v32
	global_wb scope:SCOPE_SE
	s_wait_dscnt 0x0
	s_barrier_signal -1
	s_barrier_wait -1
	v_lshlrev_b32_e32 v18, 2, v17
	v_lshlrev_b32_e32 v16, 2, v4
	global_inv scope:SCOPE_SE
	v_add_nc_u32_e32 v79, 0x2c0, v4
	s_delay_alu instid0(VALU_DEP_1)
	v_and_or_b32 v20, 0x7fc, v79, v17
	v_pk_add_f16 v15, v5, v9 neg_lo:[0,1] neg_hi:[0,1]
	v_pk_add_f16 v7, v6, v10 neg_lo:[0,1] neg_hi:[0,1]
	v_pk_add_f16 v10, v11, v13 neg_lo:[0,1] neg_hi:[0,1]
	v_pk_add_f16 v13, v12, v14 neg_lo:[0,1] neg_hi:[0,1]
	v_lshlrev_b32_e32 v46, 2, v20
	v_pk_fma_f16 v14, v5, 2.0, v15 op_sel_hi:[1,0,1] neg_lo:[0,0,1] neg_hi:[0,0,1]
	v_pk_fma_f16 v6, v6, 2.0, v7 op_sel_hi:[1,0,1] neg_lo:[0,0,1] neg_hi:[0,0,1]
	;; [unrolled: 1-line block ×4, first 2 shown]
	ds_store_2addr_b64 v48, v[14:15], v[6:7] offset1:176
	ds_store_b64 v16, v[9:10] offset:2816
	ds_store_b64 v48, v[12:13] offset:4224
	global_wb scope:SCOPE_SE
	s_wait_dscnt 0x0
	s_barrier_signal -1
	s_barrier_wait -1
	global_inv scope:SCOPE_SE
	global_load_b32 v42, v18, s[10:11]
	ds_load_2addr_b32 v[9:10], v39 offset1:176
	ds_load_2addr_b32 v[11:12], v3 offset0:64 offset1:240
	ds_load_2addr_b32 v[13:14], v1 offset0:32 offset1:208
	;; [unrolled: 1-line block ×3, first 2 shown]
	v_and_or_b32 v18, 0x1fc, v4, v17
	v_lshlrev_b32_e32 v5, 1, v78
	v_lshlrev_b32_e32 v6, 1, v77
	v_and_b32_e32 v7, 3, v32
	global_wb scope:SCOPE_SE
	s_wait_loadcnt_dscnt 0x0
	v_lshlrev_b32_e32 v44, 2, v18
	v_and_or_b32 v19, 0x3fc, v5, v17
	v_and_or_b32 v17, 0x7fc, v6, v17
	v_lshlrev_b32_e32 v21, 2, v7
	s_barrier_signal -1
	s_barrier_wait -1
	v_lshlrev_b32_e32 v45, 2, v19
	v_lshlrev_b32_e32 v47, 2, v17
	global_inv scope:SCOPE_SE
	v_lshrrev_b32_e32 v17, 16, v9
	v_lshrrev_b32_e32 v18, 16, v11
	;; [unrolled: 1-line block ×9, first 2 shown]
	s_delay_alu instid0(VALU_DEP_1)
	v_mul_f16_e32 v50, v18, v54
	v_mul_f16_e32 v51, v11, v54
	;; [unrolled: 1-line block ×8, first 2 shown]
	v_fma_f16 v11, v11, v42, -v50
	v_fmac_f16_e32 v51, v18, v42
	v_fma_f16 v12, v12, v42, -v52
	v_fmac_f16_e32 v53, v20, v42
	;; [unrolled: 2-line block ×4, first 2 shown]
	v_sub_f16_e32 v11, v9, v11
	v_sub_f16_e32 v18, v17, v51
	;; [unrolled: 1-line block ×8, first 2 shown]
	v_fma_f16 v9, v9, 2.0, -v11
	v_fma_f16 v17, v17, 2.0, -v18
	;; [unrolled: 1-line block ×8, first 2 shown]
	v_pack_b32_f16 v11, v11, v18
	v_pack_b32_f16 v9, v9, v17
	;; [unrolled: 1-line block ×8, first 2 shown]
	ds_store_2addr_b32 v44, v9, v11 offset1:2
	ds_store_2addr_b32 v45, v10, v12 offset1:2
	ds_store_2addr_b32 v46, v13, v15 offset1:2
	ds_store_2addr_b32 v47, v14, v16 offset1:2
	global_wb scope:SCOPE_SE
	s_wait_dscnt 0x0
	s_barrier_signal -1
	s_barrier_wait -1
	global_inv scope:SCOPE_SE
	global_load_b32 v43, v21, s[10:11] offset:8
	ds_load_2addr_b32 v[9:10], v39 offset1:176
	ds_load_2addr_b32 v[11:12], v3 offset0:64 offset1:240
	ds_load_2addr_b32 v[13:14], v1 offset0:32 offset1:208
	;; [unrolled: 1-line block ×3, first 2 shown]
	v_and_or_b32 v18, 0x1f8, v4, v7
	v_and_or_b32 v20, 0x7f8, v79, v7
	v_and_or_b32 v19, 0x3f8, v5, v7
	v_and_or_b32 v7, 0x7f8, v6, v7
	v_and_b32_e32 v17, 7, v32
	v_lshlrev_b32_e32 v50, 2, v18
	v_lshlrev_b32_e32 v52, 2, v20
	;; [unrolled: 1-line block ×5, first 2 shown]
	global_wb scope:SCOPE_SE
	s_wait_loadcnt_dscnt 0x0
	s_barrier_signal -1
	s_barrier_wait -1
	global_inv scope:SCOPE_SE
	v_lshrrev_b32_e32 v7, 16, v9
	v_lshrrev_b32_e32 v18, 16, v11
	;; [unrolled: 1-line block ×9, first 2 shown]
	s_delay_alu instid0(VALU_DEP_1)
	v_mul_f16_e32 v56, v18, v60
	v_mul_f16_e32 v57, v11, v60
	;; [unrolled: 1-line block ×8, first 2 shown]
	v_fma_f16 v11, v11, v43, -v56
	v_fmac_f16_e32 v57, v18, v43
	v_fma_f16 v12, v12, v43, -v58
	v_fmac_f16_e32 v59, v20, v43
	;; [unrolled: 2-line block ×4, first 2 shown]
	v_sub_f16_e32 v11, v9, v11
	v_sub_f16_e32 v18, v7, v57
	;; [unrolled: 1-line block ×8, first 2 shown]
	v_fma_f16 v9, v9, 2.0, -v11
	v_fma_f16 v7, v7, 2.0, -v18
	;; [unrolled: 1-line block ×8, first 2 shown]
	v_pack_b32_f16 v11, v11, v18
	v_pack_b32_f16 v7, v9, v7
	;; [unrolled: 1-line block ×8, first 2 shown]
	ds_store_2addr_b32 v50, v7, v11 offset1:4
	ds_store_2addr_b32 v51, v9, v12 offset1:4
	ds_store_2addr_b32 v52, v10, v15 offset1:4
	ds_store_2addr_b32 v53, v13, v16 offset1:4
	global_wb scope:SCOPE_SE
	s_wait_dscnt 0x0
	s_barrier_signal -1
	s_barrier_wait -1
	global_inv scope:SCOPE_SE
	global_load_b32 v49, v21, s[10:11] offset:24
	ds_load_2addr_b32 v[9:10], v39 offset1:176
	ds_load_2addr_b32 v[11:12], v3 offset0:64 offset1:240
	ds_load_2addr_b32 v[13:14], v1 offset0:32 offset1:208
	;; [unrolled: 1-line block ×3, first 2 shown]
	v_and_or_b32 v18, 0x1f0, v4, v17
	v_and_or_b32 v20, 0x7f0, v79, v17
	v_and_or_b32 v19, 0x3f0, v5, v17
	v_and_or_b32 v17, 0x7f0, v6, v17
	v_and_b32_e32 v7, 15, v32
	v_lshlrev_b32_e32 v56, 2, v18
	v_lshlrev_b32_e32 v58, 2, v20
	;; [unrolled: 1-line block ×5, first 2 shown]
	global_wb scope:SCOPE_SE
	s_wait_loadcnt_dscnt 0x0
	s_barrier_signal -1
	s_barrier_wait -1
	global_inv scope:SCOPE_SE
	v_lshrrev_b32_e32 v17, 16, v9
	v_lshrrev_b32_e32 v18, 16, v11
	;; [unrolled: 1-line block ×9, first 2 shown]
	s_delay_alu instid0(VALU_DEP_1)
	v_mul_f16_e32 v62, v18, v69
	v_mul_f16_e32 v63, v11, v69
	;; [unrolled: 1-line block ×8, first 2 shown]
	v_fma_f16 v11, v11, v49, -v62
	v_fmac_f16_e32 v63, v18, v49
	v_fma_f16 v12, v12, v49, -v64
	v_fmac_f16_e32 v65, v20, v49
	;; [unrolled: 2-line block ×4, first 2 shown]
	v_sub_f16_e32 v11, v9, v11
	v_sub_f16_e32 v18, v17, v63
	;; [unrolled: 1-line block ×8, first 2 shown]
	v_fma_f16 v9, v9, 2.0, -v11
	v_fma_f16 v17, v17, 2.0, -v18
	;; [unrolled: 1-line block ×8, first 2 shown]
	v_pack_b32_f16 v11, v11, v18
	v_pack_b32_f16 v9, v9, v17
	;; [unrolled: 1-line block ×8, first 2 shown]
	ds_store_2addr_b32 v56, v9, v11 offset1:8
	ds_store_2addr_b32 v57, v10, v12 offset1:8
	ds_store_2addr_b32 v58, v13, v15 offset1:8
	ds_store_2addr_b32 v59, v14, v16 offset1:8
	global_wb scope:SCOPE_SE
	s_wait_dscnt 0x0
	s_barrier_signal -1
	s_barrier_wait -1
	global_inv scope:SCOPE_SE
	global_load_b32 v55, v21, s[10:11] offset:56
	ds_load_2addr_b32 v[9:10], v39 offset1:176
	ds_load_2addr_b32 v[11:12], v3 offset0:64 offset1:240
	ds_load_2addr_b32 v[13:14], v1 offset0:32 offset1:208
	;; [unrolled: 1-line block ×3, first 2 shown]
	v_and_or_b32 v21, 0x3e0, v5, v7
	v_and_or_b32 v18, 0x1e0, v4, v7
	;; [unrolled: 1-line block ×4, first 2 shown]
	v_and_b32_e32 v17, 31, v32
	v_lshlrev_b32_e32 v64, 2, v21
	v_and_b32_e32 v20, 31, v77
	v_lshlrev_b32_e32 v65, 2, v22
	v_lshlrev_b32_e32 v66, 2, v7
	v_lshlrev_b32_e32 v63, 2, v18
	v_lshlrev_b32_e32 v19, 2, v17
	v_lshlrev_b32_e32 v18, 2, v20
	global_wb scope:SCOPE_SE
	s_wait_loadcnt_dscnt 0x0
	s_barrier_signal -1
	s_barrier_wait -1
	global_inv scope:SCOPE_SE
	v_and_or_b32 v4, 0x1c0, v4, v17
	v_lshrrev_b32_e32 v7, 16, v9
	v_lshrrev_b32_e32 v21, 16, v11
	;; [unrolled: 1-line block ×8, first 2 shown]
	v_and_or_b32 v6, 0x7c0, v6, v20
	v_lshrrev_b32_e32 v74, 16, v55
	s_delay_alu instid0(VALU_DEP_1)
	v_mul_f16_e32 v70, v21, v74
	v_mul_f16_e32 v71, v11, v74
	;; [unrolled: 1-line block ×8, first 2 shown]
	v_fma_f16 v11, v11, v55, -v70
	v_fmac_f16_e32 v71, v21, v55
	v_fma_f16 v12, v12, v55, -v72
	v_fmac_f16_e32 v73, v41, v55
	;; [unrolled: 2-line block ×4, first 2 shown]
	v_sub_f16_e32 v11, v9, v11
	v_sub_f16_e32 v21, v7, v71
	;; [unrolled: 1-line block ×8, first 2 shown]
	v_fma_f16 v9, v9, 2.0, -v11
	v_fma_f16 v7, v7, 2.0, -v21
	;; [unrolled: 1-line block ×8, first 2 shown]
	v_pack_b32_f16 v11, v11, v21
	v_pack_b32_f16 v7, v9, v7
	;; [unrolled: 1-line block ×8, first 2 shown]
	ds_store_2addr_b32 v63, v7, v11 offset1:16
	ds_store_2addr_b32 v64, v9, v12 offset1:16
	;; [unrolled: 1-line block ×4, first 2 shown]
	v_and_b32_e32 v7, 31, v78
	global_wb scope:SCOPE_SE
	s_wait_dscnt 0x0
	s_barrier_signal -1
	s_barrier_wait -1
	global_inv scope:SCOPE_SE
	s_clause 0x2
	global_load_b32 v61, v19, s[10:11] offset:120
	global_load_b32 v62, v18, s[10:11] offset:120
	global_load_u16 v68, v18, s[10:11] offset:122
	v_lshlrev_b32_e32 v9, 2, v7
	v_and_or_b32 v5, 0x3c0, v5, v7
	v_and_or_b32 v7, 0x7c0, v79, v17
	v_lshlrev_b32_e32 v70, 2, v4
	v_lshlrev_b32_e32 v73, 2, v6
	global_load_u16 v67, v9, s[10:11] offset:120
	ds_load_2addr_b32 v[9:10], v39 offset1:176
	ds_load_2addr_b32 v[11:12], v3 offset0:64 offset1:240
	ds_load_2addr_b32 v[0:1], v1 offset0:32 offset1:208
	;; [unrolled: 1-line block ×3, first 2 shown]
	v_lshlrev_b32_e32 v71, 2, v5
	v_lshlrev_b32_e32 v72, 2, v7
	v_add_co_u32 v13, s2, s8, v39
	s_wait_alu 0xf1ff
	v_add_co_ci_u32_e64 v14, null, s9, 0, s2
	global_wb scope:SCOPE_SE
	s_wait_loadcnt_dscnt 0x0
	s_barrier_signal -1
	s_barrier_wait -1
	global_inv scope:SCOPE_SE
	v_lshrrev_b32_e32 v4, 16, v9
	v_lshrrev_b32_e32 v5, 16, v11
	;; [unrolled: 1-line block ×10, first 2 shown]
	v_mul_f16_e32 v20, v3, v68
	v_mul_f16_e32 v17, v15, v68
	s_delay_alu instid0(VALU_DEP_4)
	v_mul_f16_e32 v18, v5, v75
	v_mul_f16_e32 v22, v11, v75
	v_mul_f16_e32 v41, v7, v76
	v_mul_f16_e32 v80, v12, v76
	v_mul_f16_e32 v81, v16, v75
	v_mul_f16_e32 v82, v2, v75
	v_fma_f16 v11, v11, v61, -v18
	v_fmac_f16_e32 v22, v5, v61
	v_fma_f16 v5, v12, v67, -v41
	v_fmac_f16_e32 v80, v7, v67
	v_fmac_f16_e32 v20, v15, v62
	v_fma_f16 v2, v2, v61, -v81
	v_fmac_f16_e32 v82, v16, v61
	v_fma_f16 v3, v3, v62, -v17
	v_sub_f16_e32 v16, v9, v11
	v_sub_f16_e32 v97, v4, v22
	;; [unrolled: 1-line block ×8, first 2 shown]
	v_fma_f16 v15, v9, 2.0, -v16
	v_fma_f16 v80, v4, 2.0, -v97
	;; [unrolled: 1-line block ×8, first 2 shown]
	v_pack_b32_f16 v0, v16, v97
	v_pack_b32_f16 v4, v15, v80
	;; [unrolled: 1-line block ×8, first 2 shown]
	ds_store_2addr_b32 v70, v4, v0 offset1:32
	ds_store_2addr_b32 v71, v5, v2 offset1:32
	;; [unrolled: 1-line block ×4, first 2 shown]
	global_wb scope:SCOPE_SE
	s_wait_dscnt 0x0
	s_barrier_signal -1
	s_barrier_wait -1
	global_inv scope:SCOPE_SE
                                        ; implicit-def: $vgpr21
	s_and_saveexec_b32 s2, vcc_lo
	s_cbranch_execz .LBB0_3
; %bb.2:
	ds_load_2addr_stride64_b32 v[15:16], v39 offset1:2
	ds_load_2addr_stride64_b32 v[11:12], v39 offset0:4 offset1:6
	ds_load_2addr_stride64_b32 v[19:20], v39 offset0:8 offset1:10
	;; [unrolled: 1-line block ×4, first 2 shown]
	ds_load_b32 v110, v39 offset:5120
	s_wait_dscnt 0x5
	v_lshrrev_b32_e32 v80, 16, v15
	v_lshrrev_b32_e32 v97, 16, v16
	s_wait_dscnt 0x4
	v_lshrrev_b32_e32 v107, 16, v11
	v_lshrrev_b32_e32 v96, 16, v12
	;; [unrolled: 3-line block ×5, first 2 shown]
	s_wait_dscnt 0x0
	v_lshrrev_b32_e32 v114, 16, v110
.LBB0_3:
	s_wait_alu 0xfffe
	s_or_b32 exec_lo, exec_lo, s2
	v_and_b32_e32 v41, 63, v32
	v_lshlrev_b32_e32 v100, 3, v78
	v_lshlrev_b32_e32 v99, 2, v79
	;; [unrolled: 1-line block ×3, first 2 shown]
	s_delay_alu instid0(VALU_DEP_4)
	v_mad_co_u64_u32 v[9:10], null, v41, 40, s[10:11]
	s_clause 0x2
	global_load_b128 v[4:7], v[9:10], off offset:248
	global_load_b128 v[0:3], v[9:10], off offset:264
	global_load_b64 v[9:10], v[9:10], off offset:280
	global_wb scope:SCOPE_SE
	s_wait_loadcnt 0x0
	s_barrier_signal -1
	s_barrier_wait -1
	global_inv scope:SCOPE_SE
	v_lshrrev_b32_e32 v91, 16, v4
	v_lshrrev_b32_e32 v86, 16, v5
	v_lshrrev_b32_e32 v93, 16, v10
	v_lshrrev_b32_e32 v82, 16, v7
	v_lshrrev_b32_e32 v77, 16, v0
	v_lshrrev_b32_e32 v78, 16, v1
	v_lshrrev_b32_e32 v92, 16, v9
	v_mul_f16_e32 v108, v97, v91
	v_mul_f16_e32 v104, v16, v91
	;; [unrolled: 1-line block ×4, first 2 shown]
	v_lshrrev_b32_e32 v84, 16, v6
	v_lshrrev_b32_e32 v83, 16, v2
	v_lshrrev_b32_e32 v85, 16, v3
	v_mul_f16_e32 v109, v107, v86
	v_mul_f16_e32 v103, v11, v86
	;; [unrolled: 1-line block ×7, first 2 shown]
	v_fma_f16 v111, v16, v4, -v108
	v_fmac_f16_e32 v104, v97, v4
	v_fma_f16 v16, v110, v10, -v122
	v_fmac_f16_e32 v79, v114, v10
	v_mul_f16_e32 v115, v96, v84
	v_mul_f16_e32 v102, v12, v84
	;; [unrolled: 1-line block ×8, first 2 shown]
	v_fma_f16 v109, v11, v5, -v109
	v_fmac_f16_e32 v103, v107, v5
	v_fmac_f16_e32 v101, v105, v7
	v_fma_f16 v105, v20, v0, -v117
	v_fma_f16 v20, v17, v1, -v118
	;; [unrolled: 1-line block ×3, first 2 shown]
	v_fmac_f16_e32 v81, v113, v9
	v_sub_f16_e64 v148, v111, v16
	v_sub_f16_e64 v153, v104, v79
	v_mul_f16_e32 v88, v18, v83
	v_fma_f16 v108, v12, v6, -v115
	v_fmac_f16_e32 v102, v96, v6
	v_fma_f16 v107, v19, v7, -v116
	v_fma_f16 v19, v18, v2, -v119
	;; [unrolled: 1-line block ×3, first 2 shown]
	v_fmac_f16_e32 v87, v112, v3
	v_add_f16_e64 v140, v111, v16
	v_add_f16_e64 v158, v104, v79
	v_sub_f16_e64 v147, v109, v17
	v_sub_f16_e64 v152, v103, v81
	v_mul_f16_e64 v112, 0xb853, v153
	v_mul_f16_e64 v116, 0xb853, v148
	;; [unrolled: 1-line block ×6, first 2 shown]
	v_fmac_f16_e32 v90, v95, v0
	v_fmac_f16_e32 v88, v94, v2
	v_add_f16_e64 v139, v109, v17
	v_add_f16_e64 v157, v103, v81
	v_sub_f16_e64 v142, v108, v18
	v_sub_f16_e64 v151, v102, v87
	v_mul_f16_e64 v110, 0xbb47, v152
	v_mul_f16_e64 v114, 0xbb47, v147
	;; [unrolled: 1-line block ×6, first 2 shown]
	v_fma_f16 v11, 0x36a6, v140, v124
	v_fma_f16 v12, 0xb08e, v140, v135
	;; [unrolled: 1-line block ×3, first 2 shown]
	v_fma_f16 v159, v158, 0x3abb, -v116
	v_fma_f16 v162, v158, 0x36a6, -v129
	;; [unrolled: 1-line block ×3, first 2 shown]
	v_fmac_f16_e32 v89, v106, v1
	v_add_f16_e64 v136, v108, v18
	v_add_f16_e64 v156, v102, v87
	v_sub_f16_e64 v150, v101, v88
	v_sub_f16_e64 v143, v107, v19
	v_mul_f16_e64 v106, 0xbbeb, v151
	v_mul_f16_e64 v123, 0x3482, v151
	;; [unrolled: 1-line block ×6, first 2 shown]
	v_fma_f16 v21, 0xb93d, v139, v125
	v_fma_f16 v94, 0xbbad, v139, v133
	;; [unrolled: 1-line block ×3, first 2 shown]
	v_fma_f16 v167, v157, 0x36a6, -v114
	v_fma_f16 v168, v157, 0xb93d, -v130
	;; [unrolled: 1-line block ×3, first 2 shown]
	v_add_f16_e32 v11, v15, v11
	v_add_f16_e32 v12, v15, v12
	;; [unrolled: 1-line block ×3, first 2 shown]
	v_add_f16_e64 v159, v80, v159
	v_add_f16_e64 v162, v80, v162
	;; [unrolled: 1-line block ×4, first 2 shown]
	v_sub_f16_e64 v149, v90, v89
	v_add_f16_e64 v155, v101, v88
	v_sub_f16_e64 v138, v105, v20
	v_mul_f16_e64 v120, 0x3beb, v150
	v_mul_f16_e64 v126, 0xb853, v150
	;; [unrolled: 1-line block ×6, first 2 shown]
	v_fma_f16 v96, 0xbbad, v136, v123
	v_fma_f16 v97, 0x36a6, v136, v131
	;; [unrolled: 1-line block ×3, first 2 shown]
	v_fma_f16 v171, v156, 0xb08e, -v118
	v_fma_f16 v172, v156, 0xbbad, -v128
	;; [unrolled: 1-line block ×3, first 2 shown]
	v_add_f16_e32 v11, v21, v11
	v_add_f16_e32 v12, v94, v12
	v_add_f16_e64 v21, v166, v95
	v_add_f16_e64 v94, v167, v159
	;; [unrolled: 1-line block ×6, first 2 shown]
	v_mul_f16_e64 v119, 0x3853, v149
	v_mul_f16_e64 v121, 0xba0c, v149
	;; [unrolled: 1-line block ×6, first 2 shown]
	v_fma_f16 v160, 0xb08e, v134, v120
	v_fma_f16 v161, 0x3abb, v134, v126
	;; [unrolled: 1-line block ×3, first 2 shown]
	v_fma_f16 v175, v155, 0xb93d, -v117
	v_fma_f16 v176, v155, 0xb08e, -v127
	;; [unrolled: 1-line block ×3, first 2 shown]
	v_add_f16_e32 v11, v96, v11
	v_add_f16_e32 v12, v97, v12
	v_add_f16_e64 v21, v170, v21
	v_add_f16_e64 v94, v171, v94
	;; [unrolled: 1-line block ×4, first 2 shown]
	v_fma_f16 v163, 0x3abb, v132, v119
	v_fma_f16 v164, 0xb93d, v132, v121
	;; [unrolled: 1-line block ×3, first 2 shown]
	v_fma_f16 v179, v154, 0xbbad, -v115
	v_fma_f16 v180, v154, 0x3abb, -v122
	;; [unrolled: 1-line block ×3, first 2 shown]
	v_add_f16_e64 v11, v160, v11
	v_add_f16_e64 v97, v161, v12
	;; [unrolled: 1-line block ×12, first 2 shown]
	v_lshrrev_b32_e32 v21, 6, v32
	s_and_saveexec_b32 s2, vcc_lo
	s_cbranch_execz .LBB0_5
; %bb.4:
	v_mul_f16_e64 v179, 0xb93d, v158
	v_mul_f16_e64 v185, 0xb08e, v157
	;; [unrolled: 1-line block ×5, first 2 shown]
	v_fma_f16 v184, 0x3a0c, v148, v179
	v_fma_f16 v189, 0xbbeb, v147, v185
	v_mul_f16_e64 v197, 0x3beb, v152
	v_fma_f16 v196, 0xb93d, v140, v193
	v_mul_f16_e64 v198, 0x36a6, v154
	v_add_f16_e64 v184, v80, v184
	v_mul_f16_e64 v200, 0xb853, v151
	v_fma_f16 v199, 0xb08e, v139, v197
	v_add_f16_e64 v196, v15, v196
	v_mul_f16_e64 v160, 0x3abb, v158
	v_add_f16_e64 v184, v189, v184
	v_fma_f16 v189, 0x3853, v142, v190
	v_mul_f16_e64 v162, 0x36a6, v158
	v_mul_f16_e64 v164, 0xb08e, v158
	;; [unrolled: 1-line block ×3, first 2 shown]
	v_add_f16_e64 v196, v199, v196
	v_add_f16_e64 v184, v189, v184
	v_fma_f16 v189, 0x3482, v143, v194
	v_fma_f16 v199, 0x3abb, v136, v200
	v_mul_f16_e64 v201, 0xb482, v150
	v_mul_f16_e64 v166, 0x36a6, v157
	;; [unrolled: 1-line block ×3, first 2 shown]
	v_add_f16_e64 v184, v189, v184
	v_fma_f16 v189, 0xbb47, v138, v198
	v_mul_f16_e64 v170, 0xbbad, v157
	v_mul_f16_e64 v157, 0x3abb, v157
	v_add_f16_e64 v196, v199, v196
	v_fma_f16 v199, 0xbbad, v134, v201
	v_add_f16_e64 v184, v189, v184
	v_fma_f16 v189, 0x3482, v148, v158
	v_mul_f16_e64 v202, 0x3b47, v149
	v_fmac_f16_e64 v158, 0xb482, v148
	v_add_f16_e32 v111, v15, v111
	v_add_f16_e32 v104, v80, v104
	v_mul_f16_e64 v172, 0xb08e, v156
	v_mul_f16_e64 v174, 0xbbad, v156
	;; [unrolled: 1-line block ×3, first 2 shown]
	v_add_f16_e64 v189, v80, v189
	v_fma_f16 v203, 0xb853, v147, v157
	v_mul_f16_e64 v156, 0xb93d, v156
	v_add_f16_e64 v196, v199, v196
	v_fma_f16 v199, 0x36a6, v132, v202
	v_mul_f16_e64 v153, 0xb482, v153
	v_add_f16_e64 v158, v80, v158
	v_fmac_f16_e64 v157, 0x3853, v147
	v_add_f16_e32 v109, v111, v109
	v_add_f16_e32 v103, v104, v103
	v_mul_f16_e64 v178, 0xb93d, v155
	v_mul_f16_e64 v181, 0xb08e, v155
	;; [unrolled: 1-line block ×3, first 2 shown]
	v_add_f16_e64 v189, v203, v189
	v_fma_f16 v203, 0x3a0c, v142, v156
	v_mul_f16_e64 v155, 0x36a6, v155
	v_add_f16_e64 v196, v199, v196
	v_fma_f16 v199, 0xbbad, v140, v153
	v_mul_f16_e64 v152, 0x3853, v152
	v_fma_f16 v153, v140, 0xbbad, -v153
	v_add_f16_e64 v157, v157, v158
	v_fmac_f16_e64 v156, 0xba0c, v142
	v_add_f16_e32 v108, v109, v108
	v_add_f16_e32 v102, v103, v102
	v_mul_f16_e64 v159, 0x3abb, v140
	v_mul_f16_e64 v161, 0x36a6, v140
	;; [unrolled: 1-line block ×3, first 2 shown]
	v_add_f16_e64 v189, v203, v189
	v_fma_f16 v203, 0xbb47, v143, v155
	v_fma_f16 v204, 0x3abb, v139, v152
	v_add_f16_e64 v153, v15, v153
	v_fma_f16 v152, v139, 0x3abb, -v152
	v_add_f16_e64 v156, v156, v157
	v_fmac_f16_e64 v155, 0x3b47, v143
	v_fmac_f16_e64 v179, 0xba0c, v148
	;; [unrolled: 1-line block ×3, first 2 shown]
	v_add_f16_e64 v143, v144, v164
	v_add_f16_e64 v129, v129, v162
	v_add_f16_e64 v109, v116, v160
	v_add_f16_e32 v107, v108, v107
	v_add_f16_e32 v101, v102, v101
	v_fma_f16 v140, v140, 0xb93d, -v193
	v_mul_f16_e64 v165, 0x36a6, v139
	v_add_f16_e64 v152, v152, v153
	v_add_f16_e64 v153, v155, v156
	;; [unrolled: 1-line block ×4, first 2 shown]
	v_sub_f16_e64 v135, v163, v135
	v_add_f16_e64 v129, v80, v129
	v_sub_f16_e64 v124, v161, v124
	v_sub_f16_e64 v112, v159, v112
	v_add_f16_e32 v80, v80, v109
	v_add_f16_e64 v102, v114, v166
	v_add_f16_e32 v105, v107, v105
	v_add_f16_e32 v90, v101, v90
	v_mul_f16_e64 v167, 0xb93d, v139
	v_mul_f16_e64 v169, 0xbbad, v139
	v_mul_f16_e64 v187, 0xbbad, v154
	v_mul_f16_e64 v191, 0x3abb, v154
	v_mul_f16_e64 v195, 0xb93d, v154
	v_mul_f16_e64 v154, 0xb08e, v154
	v_add_f16_e64 v199, v15, v199
	v_mul_f16_e64 v151, 0xba0c, v151
	v_add_f16_e64 v140, v15, v140
	v_fma_f16 v139, v139, 0xb08e, -v197
	v_mul_f16_e64 v171, 0xb08e, v136
	v_add_f16_e64 v135, v15, v135
	v_add_f16_e32 v124, v15, v124
	v_add_f16_e32 v15, v15, v112
	v_sub_f16_e64 v107, v165, v110
	v_add_f16_e32 v80, v102, v80
	v_add_f16_e64 v101, v118, v172
	v_add_f16_e32 v20, v105, v20
	v_add_f16_e32 v89, v90, v89
	v_mul_f16_e64 v173, 0xbbad, v136
	v_mul_f16_e64 v175, 0x36a6, v136
	v_add_f16_e64 v189, v203, v189
	v_fma_f16 v203, 0x3beb, v138, v154
	v_add_f16_e64 v199, v204, v199
	v_fma_f16 v204, 0xb93d, v136, v151
	v_mul_f16_e64 v150, 0x3b47, v150
	v_fma_f16 v151, v136, 0xb93d, -v151
	v_add_f16_e64 v139, v139, v140
	v_fma_f16 v136, v136, 0x3abb, -v200
	v_add_f16_e64 v145, v145, v170
	v_sub_f16_e64 v133, v169, v133
	v_add_f16_e64 v130, v130, v168
	v_sub_f16_e64 v125, v167, v125
	v_fmac_f16_e64 v185, 0x3beb, v147
	v_mul_f16_e64 v177, 0xb93d, v134
	v_add_f16_e32 v15, v107, v15
	v_sub_f16_e64 v90, v171, v106
	v_add_f16_e32 v80, v101, v80
	v_add_f16_e32 v19, v20, v19
	v_add_f16_e64 v20, v117, v178
	v_add_f16_e32 v88, v89, v88
	v_mul_f16_e64 v180, 0xb08e, v134
	v_mul_f16_e64 v182, 0x3abb, v134
	v_add_f16_e64 v189, v203, v189
	v_add_f16_e64 v199, v204, v199
	v_fma_f16 v203, 0x36a6, v134, v150
	v_mul_f16_e64 v149, 0xbbeb, v149
	v_fma_f16 v150, v134, 0x36a6, -v150
	v_add_f16_e64 v136, v136, v139
	v_fma_f16 v134, v134, 0xbbad, -v201
	v_add_f16_e64 v139, v145, v143
	v_add_f16_e64 v143, v146, v176
	;; [unrolled: 1-line block ×3, first 2 shown]
	v_sub_f16_e64 v131, v175, v131
	v_add_f16_e64 v129, v130, v129
	v_add_f16_e64 v128, v128, v174
	v_add_f16_e32 v124, v125, v124
	v_sub_f16_e64 v123, v173, v123
	v_add_f16_e64 v147, v151, v152
	v_add_f16_e64 v151, v185, v155
	v_fmac_f16_e64 v190, 0xb853, v142
	v_mul_f16_e64 v186, 0xbbad, v132
	v_add_f16_e32 v15, v90, v15
	v_sub_f16_e64 v89, v177, v113
	v_add_f16_e32 v18, v19, v18
	v_add_f16_e32 v19, v20, v80
	v_add_f16_e32 v20, v88, v87
	v_mul_f16_e64 v188, 0x3abb, v132
	v_mul_f16_e64 v192, 0xb93d, v132
	v_add_f16_e64 v158, v203, v199
	v_fma_f16 v199, 0xb08e, v132, v149
	v_fma_f16 v144, v132, 0xb08e, -v149
	v_add_f16_e64 v134, v134, v136
	v_fma_f16 v132, v132, 0x36a6, -v202
	v_add_f16_e64 v136, v143, v139
	v_add_f16_e64 v139, v141, v183
	;; [unrolled: 1-line block ×3, first 2 shown]
	v_sub_f16_e64 v126, v182, v126
	v_add_f16_e64 v128, v128, v129
	v_add_f16_e64 v127, v127, v181
	v_add_f16_e32 v123, v123, v124
	v_sub_f16_e64 v120, v180, v120
	v_add_f16_e64 v147, v150, v147
	v_add_f16_e64 v150, v190, v151
	;; [unrolled: 1-line block ×3, first 2 shown]
	v_add_f16_e32 v15, v89, v15
	v_add_f16_e32 v17, v18, v17
	v_mul_u32_u24_e32 v18, 0x2c0, v21
	v_add_f16_e32 v20, v20, v81
	v_sub_f16_e64 v22, v186, v22
	v_add_f16_e64 v132, v132, v134
	v_add_f16_e64 v134, v139, v136
	;; [unrolled: 1-line block ×6, first 2 shown]
	v_sub_f16_e64 v111, v192, v121
	v_add_f16_e32 v120, v120, v123
	v_sub_f16_e64 v103, v188, v119
	v_fmac_f16_e64 v154, 0xbbeb, v138
	v_add_f16_e64 v140, v194, v150
	v_fmac_f16_e64 v198, 0x3b47, v138
	v_add_f16_e32 v19, v80, v19
	v_add_f16_e32 v16, v17, v16
	v_or_b32_e32 v17, v18, v41
	v_add_f16_e32 v18, v20, v79
	v_add_f16_e32 v15, v22, v15
	v_add_f16_e64 v129, v135, v134
	v_add_f16_e32 v104, v122, v125
	v_add_f16_e32 v20, v103, v120
	;; [unrolled: 1-line block ×3, first 2 shown]
	v_add_f16_e64 v142, v154, v153
	v_add_f16_e64 v138, v144, v147
	;; [unrolled: 1-line block ×4, first 2 shown]
	v_lshlrev_b32_e32 v17, 2, v17
	v_pack_b32_f16 v16, v16, v18
	v_pack_b32_f16 v15, v15, v19
	;; [unrolled: 1-line block ×8, first 2 shown]
	v_perm_b32 v81, v94, v11, 0x5040100
	v_perm_b32 v87, v95, v12, 0x5040100
	;; [unrolled: 1-line block ×3, first 2 shown]
	ds_store_2addr_stride64_b32 v17, v16, v15 offset1:1
	ds_store_2addr_stride64_b32 v17, v18, v19 offset0:2 offset1:3
	ds_store_2addr_stride64_b32 v17, v20, v22 offset0:4 offset1:5
	ds_store_2addr_stride64_b32 v17, v79, v80 offset0:6 offset1:7
	ds_store_2addr_stride64_b32 v17, v81, v87 offset0:8 offset1:9
	ds_store_b32 v17, v88 offset:2560
.LBB0_5:
	s_wait_alu 0xfffe
	s_or_b32 exec_lo, exec_lo, s2
	global_wb scope:SCOPE_SE
	s_wait_dscnt 0x0
	s_barrier_signal -1
	s_barrier_wait -1
	global_inv scope:SCOPE_SE
	s_clause 0x3
	global_load_b32 v22, v39, s[10:11] offset:2808
	global_load_b32 v79, v39, s[10:11] offset:3512
	;; [unrolled: 1-line block ×4, first 2 shown]
	v_add_nc_u32_e32 v17, 0xa00, v39
	v_add_nc_u32_e32 v16, 0x500, v39
	;; [unrolled: 1-line block ×3, first 2 shown]
	ds_load_2addr_b32 v[18:19], v39 offset1:176
	ds_load_2addr_b32 v[101:102], v17 offset0:64 offset1:240
	ds_load_2addr_b32 v[103:104], v16 offset0:32 offset1:208
	;; [unrolled: 1-line block ×3, first 2 shown]
	v_add_nc_u32_e32 v20, 0xd00, v39
	s_add_nc_u64 s[2:3], s[8:9], 0x1600
	s_wait_dscnt 0x3
	v_lshrrev_b32_e32 v107, 16, v18
	s_wait_dscnt 0x2
	v_lshrrev_b32_e32 v109, 16, v101
	v_lshrrev_b32_e32 v110, 16, v102
	s_wait_dscnt 0x0
	v_lshrrev_b32_e32 v112, 16, v105
	v_lshrrev_b32_e32 v114, 16, v106
	;; [unrolled: 1-line block ×5, first 2 shown]
	s_wait_loadcnt 0x3
	v_lshrrev_b32_e32 v89, 16, v22
	s_wait_loadcnt 0x2
	v_lshrrev_b32_e32 v90, 16, v79
	;; [unrolled: 2-line block ×4, first 2 shown]
	v_mul_f16_e32 v115, v109, v89
	v_mul_f16_e32 v116, v101, v89
	;; [unrolled: 1-line block ×8, first 2 shown]
	v_fma_f16 v101, v101, v22, -v115
	v_fmac_f16_e32 v116, v109, v22
	v_fma_f16 v102, v102, v79, -v117
	v_fmac_f16_e32 v118, v110, v79
	;; [unrolled: 2-line block ×4, first 2 shown]
	v_sub_f16_e32 v101, v18, v101
	v_sub_f16_e32 v109, v107, v116
	;; [unrolled: 1-line block ×8, first 2 shown]
	v_fma_f16 v18, v18, 2.0, -v101
	v_fma_f16 v107, v107, 2.0, -v109
	v_fma_f16 v19, v19, 2.0, -v102
	v_fma_f16 v108, v108, 2.0, -v110
	v_fma_f16 v103, v103, 2.0, -v105
	v_fma_f16 v111, v111, 2.0, -v112
	v_fma_f16 v104, v104, 2.0, -v106
	v_fma_f16 v113, v113, 2.0, -v114
	v_pack_b32_f16 v101, v101, v109
	v_pack_b32_f16 v18, v18, v107
	v_pack_b32_f16 v19, v19, v108
	v_pack_b32_f16 v102, v102, v110
	v_pack_b32_f16 v105, v105, v112
	v_pack_b32_f16 v103, v103, v111
	v_pack_b32_f16 v104, v104, v113
	v_pack_b32_f16 v106, v106, v114
	ds_store_b32 v39, v101 offset:2816
	ds_store_2addr_b32 v39, v18, v19 offset1:176
	ds_store_2addr_b32 v20, v102, v105 offset0:48 offset1:224
	ds_store_2addr_b32 v16, v103, v104 offset0:32 offset1:208
	ds_store_b32 v39, v106 offset:4928
	global_wb scope:SCOPE_SE
	s_wait_dscnt 0x0
	s_barrier_signal -1
	s_barrier_wait -1
	global_inv scope:SCOPE_SE
	s_clause 0x7
	global_load_b32 v18, v[13:14], off offset:5632
	global_load_b32 v105, v39, s[2:3] offset:704
	global_load_b32 v106, v39, s[2:3] offset:2816
	;; [unrolled: 1-line block ×7, first 2 shown]
	ds_load_2addr_b32 v[13:14], v39 offset1:176
	v_add_nc_u32_e32 v113, 0x200, v39
	v_add_nc_u32_e32 v115, 0x800, v39
	s_wait_dscnt 0x0
	v_lshrrev_b32_e32 v19, 16, v13
	s_wait_loadcnt 0x6
	v_lshrrev_b32_e32 v112, 16, v105
	s_wait_loadcnt 0x5
	;; [unrolled: 2-line block ×3, first 2 shown]
	v_lshrrev_b32_e32 v117, 16, v107
	v_lshrrev_b32_e32 v101, 16, v18
	s_wait_loadcnt 0x1
	v_lshrrev_b32_e32 v118, 16, v110
	s_delay_alu instid0(VALU_DEP_2) | instskip(SKIP_1) | instid1(VALU_DEP_2)
	v_mul_f16_e32 v102, v19, v101
	v_mul_f16_e32 v101, v13, v101
	v_fma_f16 v13, v13, v18, -v102
	s_delay_alu instid0(VALU_DEP_2) | instskip(NEXT) | instid1(VALU_DEP_1)
	v_fmac_f16_e32 v101, v19, v18
	v_pack_b32_f16 v13, v13, v101
	ds_store_b32 v39, v13
	ds_load_2addr_b32 v[18:19], v17 offset0:64 offset1:240
	ds_load_2addr_b32 v[101:102], v16 offset0:32 offset1:208
	;; [unrolled: 1-line block ×3, first 2 shown]
	v_lshrrev_b32_e32 v13, 16, v14
	s_delay_alu instid0(VALU_DEP_1) | instskip(SKIP_1) | instid1(VALU_DEP_2)
	v_mul_f16_e32 v114, v13, v112
	v_mul_f16_e32 v112, v14, v112
	v_fma_f16 v14, v14, v105, -v114
	s_delay_alu instid0(VALU_DEP_2)
	v_fmac_f16_e32 v112, v13, v105
	v_lshrrev_b32_e32 v13, 16, v108
	v_lshrrev_b32_e32 v105, 16, v109
	s_wait_loadcnt 0x0
	v_lshrrev_b32_e32 v114, 16, v111
	v_pack_b32_f16 v14, v14, v112
	s_wait_dscnt 0x1
	v_lshrrev_b32_e32 v122, 16, v101
	v_lshrrev_b32_e32 v112, 16, v18
	v_mul_f16_e32 v119, v18, v116
	v_lshrrev_b32_e32 v120, 16, v19
	s_wait_dscnt 0x0
	v_lshrrev_b32_e32 v124, 16, v103
	v_lshrrev_b32_e32 v126, 16, v102
	;; [unrolled: 1-line block ×3, first 2 shown]
	v_mul_f16_e32 v123, v101, v13
	v_mul_f16_e32 v13, v122, v13
	;; [unrolled: 1-line block ×5, first 2 shown]
	v_fmac_f16_e32 v119, v112, v106
	v_mul_f16_e32 v112, v120, v117
	v_mul_f16_e32 v105, v124, v105
	v_mul_f16_e32 v127, v102, v114
	v_mul_f16_e32 v114, v126, v114
	v_mul_f16_e64 v129, v104, v118
	v_mul_f16_e64 v117, v128, v118
	v_fmac_f16_e32 v123, v122, v108
	v_fma_f16 v13, v101, v108, -v13
	v_fmac_f16_e32 v121, v120, v107
	v_fmac_f16_e32 v125, v124, v109
	v_fma_f16 v19, v19, v107, -v112
	v_fma_f16 v101, v103, v109, -v105
	v_fmac_f16_e32 v127, v126, v111
	v_fma_f16 v18, v18, v106, -v116
	v_fma_f16 v102, v102, v111, -v114
	v_fmac_f16_e64 v129, v128, v110
	v_fma_f16 v103, v104, v110, -v117
	v_pack_b32_f16 v13, v13, v123
	v_pack_b32_f16 v19, v19, v121
	;; [unrolled: 1-line block ×6, first 2 shown]
	ds_store_2addr_b32 v113, v14, v13 offset0:48 offset1:224
	ds_store_2addr_b32 v20, v19, v101 offset0:48 offset1:224
	;; [unrolled: 1-line block ×3, first 2 shown]
	ds_store_b32 v39, v103 offset:4928
	global_wb scope:SCOPE_SE
	s_wait_dscnt 0x0
	s_barrier_signal -1
	s_barrier_wait -1
	global_inv scope:SCOPE_SE
	ds_load_2addr_b32 v[13:14], v39 offset1:176
	ds_load_2addr_b32 v[18:19], v17 offset0:64 offset1:240
	ds_load_2addr_b32 v[101:102], v16 offset0:32 offset1:208
	;; [unrolled: 1-line block ×3, first 2 shown]
	global_wb scope:SCOPE_SE
	s_wait_dscnt 0x0
	s_barrier_signal -1
	s_barrier_wait -1
	global_inv scope:SCOPE_SE
	v_pk_add_f16 v20, v13, v18 neg_lo:[0,1] neg_hi:[0,1]
	v_pk_add_f16 v105, v14, v19 neg_lo:[0,1] neg_hi:[0,1]
	;; [unrolled: 1-line block ×4, first 2 shown]
	s_delay_alu instid0(VALU_DEP_4) | instskip(NEXT) | instid1(VALU_DEP_4)
	v_pk_fma_f16 v19, v13, 2.0, v20 op_sel_hi:[1,0,1] neg_lo:[0,0,1] neg_hi:[0,0,1]
	v_pk_fma_f16 v104, v14, 2.0, v105 op_sel_hi:[1,0,1] neg_lo:[0,0,1] neg_hi:[0,0,1]
	s_delay_alu instid0(VALU_DEP_4) | instskip(NEXT) | instid1(VALU_DEP_4)
	v_pk_fma_f16 v106, v101, 2.0, v107 op_sel_hi:[1,0,1] neg_lo:[0,0,1] neg_hi:[0,0,1]
	v_pk_fma_f16 v102, v102, 2.0, v103 op_sel_hi:[1,0,1] neg_lo:[0,0,1] neg_hi:[0,0,1]
	ds_store_b64 v48, v[19:20]
	ds_store_b64 v100, v[104:105]
	;; [unrolled: 1-line block ×4, first 2 shown]
	global_wb scope:SCOPE_SE
	s_wait_dscnt 0x0
	s_barrier_signal -1
	s_barrier_wait -1
	global_inv scope:SCOPE_SE
	ds_load_2addr_b32 v[13:14], v39 offset1:176
	ds_load_2addr_b32 v[18:19], v17 offset0:64 offset1:240
	ds_load_2addr_b32 v[98:99], v16 offset0:32 offset1:208
	;; [unrolled: 1-line block ×3, first 2 shown]
	global_wb scope:SCOPE_SE
	s_wait_dscnt 0x0
	s_barrier_signal -1
	s_barrier_wait -1
	global_inv scope:SCOPE_SE
	v_lshrrev_b32_e32 v20, 16, v13
	v_lshrrev_b32_e32 v48, 16, v18
	;; [unrolled: 1-line block ×3, first 2 shown]
	v_mul_f16_e32 v108, v54, v18
	v_lshrrev_b32_e32 v105, 16, v100
	v_mul_f16_e32 v109, v54, v19
	v_lshrrev_b32_e32 v107, 16, v101
	v_mul_f16_e32 v112, v54, v48
	v_fma_f16 v48, v42, v48, -v108
	v_mul_f16_e32 v108, v54, v103
	v_mul_f16_e32 v110, v54, v100
	v_fma_f16 v103, v42, v103, -v109
	v_mul_f16_e32 v109, v54, v105
	v_mul_f16_e32 v111, v54, v101
	;; [unrolled: 1-line block ×3, first 2 shown]
	v_fmac_f16_e32 v112, v42, v18
	v_lshrrev_b32_e32 v102, 16, v14
	v_fmac_f16_e32 v108, v42, v19
	v_lshrrev_b32_e32 v104, 16, v98
	v_fma_f16 v105, v42, v105, -v110
	v_fmac_f16_e32 v109, v42, v100
	v_lshrrev_b32_e32 v106, 16, v99
	v_fma_f16 v107, v42, v107, -v111
	v_fmac_f16_e32 v54, v42, v101
	v_sub_f16_e32 v18, v20, v48
	v_sub_f16_e32 v100, v13, v112
	;; [unrolled: 1-line block ×8, first 2 shown]
	v_fma_f16 v20, v20, 2.0, -v18
	v_fma_f16 v13, v13, 2.0, -v100
	;; [unrolled: 1-line block ×8, first 2 shown]
	v_pack_b32_f16 v18, v100, v18
	v_pack_b32_f16 v13, v13, v20
	v_pack_b32_f16 v19, v101, v19
	v_pack_b32_f16 v14, v14, v102
	v_pack_b32_f16 v42, v103, v42
	v_pack_b32_f16 v20, v98, v104
	v_pack_b32_f16 v48, v54, v48
	v_pack_b32_f16 v54, v99, v105
	ds_store_2addr_b32 v44, v13, v18 offset1:2
	ds_store_2addr_b32 v45, v14, v19 offset1:2
	;; [unrolled: 1-line block ×4, first 2 shown]
	global_wb scope:SCOPE_SE
	s_wait_dscnt 0x0
	s_barrier_signal -1
	s_barrier_wait -1
	global_inv scope:SCOPE_SE
	ds_load_2addr_b32 v[13:14], v39 offset1:176
	ds_load_2addr_b32 v[18:19], v17 offset0:64 offset1:240
	ds_load_2addr_b32 v[44:45], v16 offset0:32 offset1:208
	;; [unrolled: 1-line block ×3, first 2 shown]
	global_wb scope:SCOPE_SE
	s_wait_dscnt 0x0
	s_barrier_signal -1
	s_barrier_wait -1
	global_inv scope:SCOPE_SE
	v_lshrrev_b32_e32 v20, 16, v13
	v_lshrrev_b32_e32 v42, 16, v18
	;; [unrolled: 1-line block ×3, first 2 shown]
	v_mul_f16_e32 v102, v60, v18
	v_lshrrev_b32_e32 v99, 16, v46
	v_mul_f16_e32 v103, v60, v19
	v_lshrrev_b32_e32 v101, 16, v47
	v_mul_f16_e32 v106, v60, v42
	v_fma_f16 v42, v43, v42, -v102
	v_mul_f16_e32 v102, v60, v54
	v_mul_f16_e32 v104, v60, v46
	v_fma_f16 v54, v43, v54, -v103
	v_mul_f16_e32 v103, v60, v99
	v_mul_f16_e32 v105, v60, v47
	;; [unrolled: 1-line block ×3, first 2 shown]
	v_fmac_f16_e32 v106, v43, v18
	v_lshrrev_b32_e32 v48, 16, v14
	v_fmac_f16_e32 v102, v43, v19
	v_lshrrev_b32_e32 v98, 16, v44
	v_fma_f16 v99, v43, v99, -v104
	v_fmac_f16_e32 v103, v43, v46
	v_lshrrev_b32_e32 v100, 16, v45
	v_fma_f16 v101, v43, v101, -v105
	v_fmac_f16_e32 v60, v43, v47
	v_sub_f16_e32 v18, v20, v42
	v_sub_f16_e32 v46, v13, v106
	;; [unrolled: 1-line block ×8, first 2 shown]
	v_fma_f16 v20, v20, 2.0, -v18
	v_fma_f16 v13, v13, 2.0, -v46
	;; [unrolled: 1-line block ×8, first 2 shown]
	v_pack_b32_f16 v18, v46, v18
	v_pack_b32_f16 v13, v13, v20
	;; [unrolled: 1-line block ×8, first 2 shown]
	ds_store_2addr_b32 v50, v13, v18 offset1:4
	ds_store_2addr_b32 v51, v14, v19 offset1:4
	;; [unrolled: 1-line block ×4, first 2 shown]
	global_wb scope:SCOPE_SE
	s_wait_dscnt 0x0
	s_barrier_signal -1
	s_barrier_wait -1
	global_inv scope:SCOPE_SE
	ds_load_2addr_b32 v[13:14], v39 offset1:176
	ds_load_2addr_b32 v[18:19], v17 offset0:64 offset1:240
	ds_load_2addr_b32 v[42:43], v16 offset0:32 offset1:208
	;; [unrolled: 1-line block ×3, first 2 shown]
	global_wb scope:SCOPE_SE
	s_wait_dscnt 0x0
	s_barrier_signal -1
	s_barrier_wait -1
	global_inv scope:SCOPE_SE
	v_lshrrev_b32_e32 v20, 16, v13
	v_lshrrev_b32_e32 v46, 16, v18
	v_lshrrev_b32_e32 v48, 16, v19
	v_mul_f16_e32 v54, v69, v18
	v_lshrrev_b32_e32 v51, 16, v44
	v_mul_f16_e32 v60, v69, v19
	v_lshrrev_b32_e32 v53, 16, v45
	v_mul_f16_e32 v100, v69, v46
	v_fma_f16 v46, v49, v46, -v54
	v_mul_f16_e32 v54, v69, v48
	v_mul_f16_e32 v98, v69, v44
	v_fma_f16 v48, v49, v48, -v60
	v_mul_f16_e32 v60, v69, v51
	v_mul_f16_e32 v99, v69, v45
	;; [unrolled: 1-line block ×3, first 2 shown]
	v_fmac_f16_e32 v100, v49, v18
	v_lshrrev_b32_e32 v47, 16, v14
	v_fmac_f16_e32 v54, v49, v19
	v_lshrrev_b32_e32 v50, 16, v42
	v_fma_f16 v51, v49, v51, -v98
	v_fmac_f16_e32 v60, v49, v44
	v_lshrrev_b32_e32 v52, 16, v43
	v_fma_f16 v53, v49, v53, -v99
	v_fmac_f16_e32 v69, v49, v45
	v_sub_f16_e32 v18, v20, v46
	v_sub_f16_e32 v46, v13, v100
	;; [unrolled: 1-line block ×8, first 2 shown]
	v_fma_f16 v20, v20, 2.0, -v18
	v_fma_f16 v13, v13, 2.0, -v46
	;; [unrolled: 1-line block ×8, first 2 shown]
	v_pack_b32_f16 v18, v46, v18
	v_pack_b32_f16 v13, v13, v20
	;; [unrolled: 1-line block ×8, first 2 shown]
	ds_store_2addr_b32 v56, v13, v18 offset1:8
	ds_store_2addr_b32 v57, v14, v19 offset1:8
	;; [unrolled: 1-line block ×4, first 2 shown]
	global_wb scope:SCOPE_SE
	s_wait_dscnt 0x0
	s_barrier_signal -1
	s_barrier_wait -1
	global_inv scope:SCOPE_SE
	ds_load_2addr_b32 v[13:14], v39 offset1:176
	ds_load_2addr_b32 v[18:19], v17 offset0:64 offset1:240
	ds_load_2addr_b32 v[42:43], v16 offset0:32 offset1:208
	;; [unrolled: 1-line block ×3, first 2 shown]
	global_wb scope:SCOPE_SE
	s_wait_dscnt 0x0
	s_barrier_signal -1
	s_barrier_wait -1
	global_inv scope:SCOPE_SE
	v_lshrrev_b32_e32 v20, 16, v13
	v_lshrrev_b32_e32 v46, 16, v18
	;; [unrolled: 1-line block ×3, first 2 shown]
	v_mul_f16_e32 v53, v74, v18
	v_lshrrev_b32_e32 v50, 16, v44
	v_mul_f16_e32 v54, v74, v19
	v_lshrrev_b32_e32 v52, 16, v45
	v_mul_f16_e32 v56, v74, v44
	v_mul_f16_e32 v58, v74, v46
	v_fma_f16 v46, v55, v46, -v53
	v_mul_f16_e32 v53, v74, v48
	v_fma_f16 v48, v55, v48, -v54
	v_mul_f16_e32 v54, v74, v50
	v_mul_f16_e32 v57, v74, v45
	v_fma_f16 v50, v55, v50, -v56
	v_mul_f16_e32 v56, v74, v52
	v_fmac_f16_e32 v58, v55, v18
	v_lshrrev_b32_e32 v47, 16, v14
	v_fmac_f16_e32 v53, v55, v19
	v_lshrrev_b32_e32 v49, 16, v42
	;; [unrolled: 2-line block ×3, first 2 shown]
	v_fma_f16 v52, v55, v52, -v57
	v_fmac_f16_e32 v56, v55, v45
	v_sub_f16_e32 v18, v20, v46
	v_sub_f16_e32 v46, v13, v58
	;; [unrolled: 1-line block ×8, first 2 shown]
	v_fma_f16 v20, v20, 2.0, -v18
	v_fma_f16 v13, v13, 2.0, -v46
	;; [unrolled: 1-line block ×8, first 2 shown]
	v_pack_b32_f16 v18, v46, v18
	v_pack_b32_f16 v13, v13, v20
	v_pack_b32_f16 v19, v48, v19
	v_pack_b32_f16 v14, v14, v47
	v_pack_b32_f16 v44, v50, v44
	v_pack_b32_f16 v20, v42, v49
	v_pack_b32_f16 v45, v52, v45
	v_pack_b32_f16 v42, v43, v51
	ds_store_2addr_b32 v63, v13, v18 offset1:16
	ds_store_2addr_b32 v64, v14, v19 offset1:16
	;; [unrolled: 1-line block ×4, first 2 shown]
	global_wb scope:SCOPE_SE
	s_wait_dscnt 0x0
	s_barrier_signal -1
	s_barrier_wait -1
	global_inv scope:SCOPE_SE
	ds_load_2addr_b32 v[50:51], v39 offset1:176
	ds_load_2addr_b32 v[13:14], v17 offset0:64 offset1:240
	ds_load_2addr_b32 v[52:53], v16 offset0:32 offset1:208
	;; [unrolled: 1-line block ×3, first 2 shown]
	global_wb scope:SCOPE_SE
	s_wait_dscnt 0x0
	s_barrier_signal -1
	s_barrier_wait -1
	global_inv scope:SCOPE_SE
	v_lshrrev_b32_e32 v17, 16, v50
	v_lshrrev_b32_e32 v18, 16, v13
	;; [unrolled: 1-line block ×4, first 2 shown]
	v_mul_f16_e32 v46, v76, v14
	v_lshrrev_b32_e32 v43, 16, v16
	v_mul_f16_e32 v45, v75, v13
	v_mul_f16_e32 v49, v75, v18
	;; [unrolled: 1-line block ×4, first 2 shown]
	v_fma_f16 v20, v67, v20, -v46
	v_mul_f16_e32 v46, v75, v42
	v_mul_f16_e32 v48, v68, v16
	;; [unrolled: 1-line block ×3, first 2 shown]
	v_fma_f16 v18, v61, v18, -v45
	v_fmac_f16_e32 v49, v61, v13
	v_lshrrev_b32_e32 v19, 16, v51
	v_fmac_f16_e32 v55, v67, v14
	v_lshrrev_b32_e32 v44, 16, v52
	v_fma_f16 v42, v61, v42, -v47
	v_fmac_f16_e32 v46, v61, v15
	v_lshrrev_b32_e32 v54, 16, v53
	v_fma_f16 v45, v62, v43, -v48
	v_fmac_f16_e32 v56, v62, v16
	v_sub_f16_e32 v48, v17, v18
	v_sub_f16_e32 v14, v50, v49
	;; [unrolled: 1-line block ×8, first 2 shown]
	v_fma_f16 v42, v17, 2.0, -v48
	v_fma_f16 v13, v50, 2.0, -v14
	;; [unrolled: 1-line block ×8, first 2 shown]
	v_pack_b32_f16 v50, v14, v48
	v_pack_b32_f16 v54, v13, v42
	;; [unrolled: 1-line block ×8, first 2 shown]
	ds_store_2addr_b32 v70, v54, v50 offset1:32
	ds_store_2addr_b32 v71, v55, v51 offset1:32
	;; [unrolled: 1-line block ×4, first 2 shown]
	global_wb scope:SCOPE_SE
	s_wait_dscnt 0x0
	s_barrier_signal -1
	s_barrier_wait -1
	global_inv scope:SCOPE_SE
	s_and_saveexec_b32 s2, vcc_lo
	s_cbranch_execz .LBB0_7
; %bb.6:
	ds_load_2addr_stride64_b32 v[13:14], v39 offset1:2
	ds_load_2addr_stride64_b32 v[19:20], v39 offset0:4 offset1:6
	ds_load_2addr_stride64_b32 v[15:16], v39 offset0:8 offset1:10
	;; [unrolled: 1-line block ×4, first 2 shown]
	ds_load_b32 v96, v39 offset:5120
	s_wait_dscnt 0x5
	v_lshrrev_b32_e32 v42, 16, v13
	v_lshrrev_b32_e32 v48, 16, v14
	s_wait_dscnt 0x4
	v_lshrrev_b32_e32 v49, 16, v19
	v_lshrrev_b32_e32 v47, 16, v20
	;; [unrolled: 3-line block ×5, first 2 shown]
	s_wait_dscnt 0x0
	v_lshrrev_b32_e32 v97, 16, v96
.LBB0_7:
	s_wait_alu 0xfffe
	s_or_b32 exec_lo, exec_lo, s2
	global_wb scope:SCOPE_SE
	s_barrier_signal -1
	s_barrier_wait -1
	global_inv scope:SCOPE_SE
	s_and_saveexec_b32 s2, vcc_lo
	s_cbranch_execz .LBB0_9
; %bb.8:
	v_mul_f16_e32 v50, v91, v48
	v_mul_f16_e32 v51, v93, v97
	;; [unrolled: 1-line block ×5, first 2 shown]
	v_fmac_f16_e32 v50, v4, v14
	v_fmac_f16_e32 v51, v10, v96
	v_mul_f16_e32 v55, v91, v14
	v_fmac_f16_e32 v52, v5, v19
	v_fmac_f16_e32 v53, v9, v12
	v_mul_f16_e32 v12, v92, v12
	v_sub_f16_e32 v14, v50, v51
	v_mul_f16_e32 v19, v86, v19
	v_fma_f16 v10, v10, v97, -v54
	v_fma_f16 v48, v4, v48, -v55
	v_sub_f16_e32 v4, v52, v53
	v_fma_f16 v9, v9, v95, -v12
	v_fma_f16 v5, v5, v49, -v19
	v_mul_f16_e32 v12, 0xba0c, v14
	v_add_f16_e32 v19, v10, v48
	v_mul_f16_e32 v49, 0x3beb, v4
	v_mul_f16_e32 v58, v85, v94
	v_add_f16_e32 v54, v9, v5
	v_mul_f16_e32 v57, v84, v47
	v_fmamk_f16 v55, v19, 0xb93d, v12
	v_mul_f16_e32 v59, v85, v11
	v_fmac_f16_e32 v58, v3, v11
	v_fmamk_f16 v56, v54, 0xb08e, v49
	v_fmac_f16_e32 v57, v6, v20
	v_add_f16_e32 v55, v42, v55
	v_mul_f16_e32 v20, v84, v20
	v_fma_f16 v3, v3, v94, -v59
	v_sub_f16_e32 v62, v48, v10
	v_sub_f16_e32 v60, v57, v58
	v_add_f16_e32 v11, v56, v55
	v_mul_f16_e32 v56, v83, v45
	v_mul_f16_e32 v55, v82, v46
	v_fma_f16 v6, v6, v47, -v20
	v_mul_f16_e32 v20, 0xb853, v60
	v_add_f16_e32 v63, v51, v50
	v_fmac_f16_e32 v56, v2, v18
	v_mul_f16_e32 v18, v83, v18
	v_fmac_f16_e32 v55, v7, v15
	v_mul_f16_e32 v15, v82, v15
	v_add_f16_e32 v47, v3, v6
	v_mul_f16_e32 v64, 0xba0c, v62
	v_fma_f16 v2, v2, v45, -v18
	v_mul_f16_e32 v45, v78, v44
	v_sub_f16_e32 v59, v55, v56
	v_fma_f16 v7, v7, v46, -v15
	v_mul_f16_e32 v15, v77, v43
	v_sub_f16_e32 v66, v5, v9
	v_fmac_f16_e32 v45, v1, v17
	v_mul_f16_e32 v17, v78, v17
	v_fmamk_f16 v18, v47, 0x3abb, v20
	v_mul_f16_e32 v46, 0xb482, v59
	v_add_f16_e32 v61, v2, v7
	v_fmac_f16_e32 v15, v0, v16
	v_mul_f16_e32 v16, v77, v16
	v_fma_f16 v67, v63, 0xb93d, -v64
	v_add_f16_e32 v68, v53, v52
	v_mul_f16_e32 v69, 0x3beb, v66
	v_fma_f16 v1, v1, v44, -v17
	v_sub_f16_e32 v17, v6, v3
	v_add_f16_e32 v11, v18, v11
	v_fmamk_f16 v18, v61, 0xbbad, v46
	v_sub_f16_e32 v65, v15, v45
	v_fma_f16 v0, v0, v43, -v16
	v_add_f16_e32 v16, v13, v67
	v_fma_f16 v43, v68, 0xb08e, -v69
	v_add_f16_e32 v44, v58, v57
	v_mul_f16_e32 v67, 0xb853, v17
	v_sub_f16_e32 v71, v7, v2
	v_mul_f16_e32 v70, 0x3b47, v65
	v_add_f16_e32 v72, v1, v0
	v_add_f16_e32 v16, v43, v16
	v_fma_f16 v43, v44, 0x3abb, -v67
	v_add_f16_e32 v73, v56, v55
	v_mul_f16_e32 v74, 0xb482, v71
	v_add_f16_e32 v11, v18, v11
	v_mul_f16_e32 v18, 0xb482, v14
	v_fmamk_f16 v75, v72, 0x36a6, v70
	v_add_f16_e32 v16, v43, v16
	v_fma_f16 v43, v73, 0xbbad, -v74
	v_mul_f16_e32 v77, 0x3853, v4
	v_fmamk_f16 v76, v19, 0xbbad, v18
	v_add_f16_e32 v11, v75, v11
	v_mul_f16_e32 v78, 0xba0c, v60
	v_add_f16_e32 v16, v43, v16
	v_sub_f16_e32 v43, v0, v1
	v_add_f16_e32 v75, v42, v76
	v_fmamk_f16 v76, v54, 0x3abb, v77
	v_fma_f16 v18, v19, 0xbbad, -v18
	v_add_f16_e32 v82, v45, v15
	v_mul_f16_e32 v83, 0x3b47, v43
	v_mul_f16_e32 v84, 0xb482, v62
	v_add_f16_e32 v75, v76, v75
	v_fmamk_f16 v76, v47, 0xb93d, v78
	v_mul_f16_e32 v85, 0x3b47, v59
	v_add_f16_e32 v18, v42, v18
	v_fma_f16 v77, v54, 0x3abb, -v77
	v_fma_f16 v12, v19, 0xb93d, -v12
	;; [unrolled: 1-line block ×4, first 2 shown]
	v_mul_f16_e32 v92, 0x3853, v66
	v_add_f16_e32 v75, v76, v75
	v_fmamk_f16 v76, v61, 0x36a6, v85
	v_fmac_f16_e32 v84, 0xbbad, v63
	v_add_f16_e32 v18, v77, v18
	v_fma_f16 v77, v47, 0xb93d, -v78
	v_add_f16_e32 v12, v42, v12
	v_fma_f16 v49, v54, 0xb08e, -v49
	v_add_f16_e32 v16, v86, v16
	v_add_f16_e32 v86, v13, v91
	v_fma_f16 v91, v68, 0x3abb, -v92
	v_mul_f16_e32 v93, 0xba0c, v17
	v_add_f16_e32 v75, v76, v75
	v_mul_f16_e32 v76, 0xbbeb, v65
	v_add_f16_e32 v84, v13, v84
	v_fmac_f16_e32 v92, 0x3abb, v68
	v_add_f16_e32 v18, v77, v18
	v_fma_f16 v77, v61, 0x36a6, -v85
	v_add_f16_e32 v12, v49, v12
	v_fma_f16 v20, v47, 0x3abb, -v20
	;; [unrolled: 2-line block ×3, first 2 shown]
	v_mul_f16_e32 v94, 0x3b47, v71
	v_fmamk_f16 v95, v72, 0xb08e, v76
	v_add_f16_e32 v84, v92, v84
	v_fmac_f16_e32 v93, 0xb93d, v44
	v_add_f16_e32 v18, v77, v18
	v_fma_f16 v76, v72, 0xb08e, -v76
	v_fmac_f16_e32 v64, 0xb93d, v63
	v_add_f16_e32 v12, v20, v12
	v_fma_f16 v20, v61, 0xbbad, -v46
	v_mul_f16_e32 v46, 0xb08e, v19
	v_add_f16_e32 v86, v91, v86
	v_fma_f16 v91, v73, 0x36a6, -v94
	v_add_f16_e32 v77, v93, v84
	v_fmac_f16_e32 v94, 0x36a6, v73
	v_add_f16_e32 v18, v76, v18
	v_add_f16_e32 v64, v13, v64
	v_fmac_f16_e32 v69, 0xb08e, v68
	v_add_f16_e32 v12, v20, v12
	v_fmamk_f16 v20, v14, 0x3beb, v46
	v_mul_f16_e32 v76, 0xbbad, v54
	v_add_f16_e32 v49, v94, v77
	v_add_f16_e32 v64, v69, v64
	v_fmac_f16_e32 v67, 0x3abb, v44
	v_fma_f16 v69, v72, 0x36a6, -v70
	v_add_f16_e32 v20, v42, v20
	v_fmamk_f16 v70, v4, 0xb482, v76
	v_mul_f16_e32 v77, 0x36a6, v47
	v_add_f16_e32 v78, v91, v86
	v_mul_f16_e32 v86, 0xbbeb, v43
	v_add_f16_e32 v64, v67, v64
	v_fmac_f16_e32 v74, 0xbbad, v73
	v_add_f16_e32 v12, v69, v12
	v_add_f16_e32 v20, v70, v20
	v_fmamk_f16 v67, v60, 0xbb47, v77
	v_mul_f16_e32 v69, 0x3abb, v61
	v_fma_f16 v85, v82, 0xb08e, -v86
	v_add_f16_e32 v64, v74, v64
	v_mul_f16_e32 v74, 0xb93d, v72
	v_add_f16_e32 v20, v67, v20
	v_fmamk_f16 v67, v59, 0x3853, v69
	v_add_f16_e32 v78, v85, v78
	v_mul_f16_e32 v85, 0x36a6, v19
	v_mul_f16_e32 v92, 0xb93d, v54
	v_add_f16_e32 v75, v95, v75
	v_add_f16_e32 v20, v67, v20
	v_fmamk_f16 v67, v65, 0x3a0c, v74
	v_mul_f16_e32 v95, 0xbbad, v47
	v_fmamk_f16 v94, v4, 0x3a0c, v92
	v_mul_f16_e32 v97, 0xb08e, v61
	v_mul_f16_e32 v99, 0x3abb, v72
	v_add_f16_e32 v20, v67, v20
	v_fmamk_f16 v67, v14, 0x3b47, v85
	v_mul_f16_e32 v19, 0x3abb, v19
	v_mul_f16_e32 v54, 0x36a6, v54
	;; [unrolled: 1-line block ×3, first 2 shown]
	v_add_f16_e32 v50, v13, v50
	v_add_f16_e32 v67, v42, v67
	v_mul_f16_e32 v61, 0xb93d, v61
	v_fmamk_f16 v104, v4, 0x3b47, v54
	v_add_f16_e32 v48, v48, v42
	v_add_f16_e32 v50, v52, v50
	;; [unrolled: 1-line block ×3, first 2 shown]
	v_fmamk_f16 v94, v60, 0xb482, v95
	v_mul_f16_e32 v70, 0xbbeb, v62
	v_mul_f16_e32 v98, 0xbb47, v62
	v_fmamk_f16 v52, v59, 0x3a0c, v61
	v_mul_f16_e32 v62, 0xb853, v62
	v_add_f16_e32 v67, v94, v67
	v_fmamk_f16 v94, v59, 0xbbeb, v97
	v_add_f16_e32 v50, v57, v50
	v_add_f16_e32 v5, v5, v48
	v_mul_f16_e32 v57, 0xbb47, v66
	v_mul_f16_e32 v96, 0xba0c, v43
	v_add_f16_e32 v67, v94, v67
	v_fmamk_f16 v94, v65, 0xb853, v99
	v_add_f16_e32 v50, v55, v50
	v_add_f16_e32 v5, v6, v5
	v_fmamk_f16 v55, v68, 0x36a6, v57
	v_mul_f16_e32 v105, 0x3853, v43
	v_add_f16_e32 v67, v94, v67
	v_fmamk_f16 v94, v14, 0x3853, v19
	v_add_f16_e32 v15, v15, v50
	v_add_f16_e32 v5, v7, v5
	v_mul_f16_e32 v7, 0xbbeb, v17
	v_mul_f16_e32 v43, 0xb482, v43
	v_add_f16_e32 v94, v42, v94
	v_add_f16_e32 v15, v45, v15
	;; [unrolled: 1-line block ×3, first 2 shown]
	v_fmamk_f16 v5, v44, 0xb08e, v7
	v_mul_f16_e32 v45, 0xba0c, v71
	v_add_f16_e32 v94, v104, v94
	v_fmamk_f16 v104, v60, 0x3beb, v47
	v_add_f16_e32 v0, v1, v0
	v_fmac_f16_e32 v83, 0x36a6, v82
	v_fmac_f16_e32 v86, 0xb08e, v82
	v_mul_f16_e32 v84, 0x3482, v66
	v_add_f16_e32 v94, v104, v94
	v_add_f16_e32 v0, v2, v0
	v_fmamk_f16 v2, v82, 0xbbad, v43
	v_add_f16_e32 v64, v83, v64
	v_fmamk_f16 v83, v63, 0xb08e, v70
	;; [unrolled: 2-line block ×3, first 2 shown]
	v_add_f16_e32 v0, v3, v0
	v_add_f16_e32 v49, v86, v49
	;; [unrolled: 1-line block ×3, first 2 shown]
	v_fmamk_f16 v86, v68, 0xbbad, v84
	v_add_f16_e32 v52, v13, v52
	v_mul_f16_e32 v91, 0x3b47, v17
	v_add_f16_e32 v0, v9, v0
	v_fma_f16 v9, v68, 0xbbad, -v84
	v_fmac_f16_e32 v85, 0xbb47, v14
	v_add_f16_e32 v50, v55, v52
	v_add_f16_e32 v83, v86, v83
	v_fmamk_f16 v86, v44, 0x36a6, v91
	v_mul_f16_e32 v93, 0xb853, v71
	v_add_f16_e32 v15, v56, v15
	v_add_f16_e32 v1, v5, v50
	v_fmamk_f16 v5, v73, 0xb93d, v45
	v_add_f16_e32 v0, v10, v0
	v_add_f16_e32 v10, v42, v85
	v_fmac_f16_e32 v92, 0xba0c, v4
	v_add_f16_e32 v83, v86, v83
	v_add_f16_e32 v1, v5, v1
	v_fmamk_f16 v86, v73, 0x3abb, v93
	v_add_f16_e32 v15, v58, v15
	v_add_f16_e32 v10, v92, v10
	v_fmac_f16_e32 v95, 0x3482, v60
	v_add_f16_e32 v1, v2, v1
	v_fma_f16 v2, v63, 0xb08e, -v70
	v_add_f16_e32 v83, v86, v83
	v_fmamk_f16 v86, v82, 0xb93d, v96
	v_mul_f16_e32 v100, 0xba0c, v66
	v_fmac_f16_e32 v46, 0xbbeb, v14
	v_add_f16_e32 v2, v13, v2
	v_add_f16_e32 v5, v53, v15
	v_fma_f16 v15, v63, 0x36a6, -v98
	v_add_f16_e32 v10, v95, v10
	v_fmac_f16_e32 v97, 0x3beb, v59
	v_add_f16_e32 v2, v9, v2
	v_fma_f16 v9, v44, 0x36a6, -v91
	v_add_f16_e32 v83, v86, v83
	v_fmamk_f16 v86, v63, 0x36a6, v98
	v_mul_f16_e32 v102, 0x3482, v17
	v_add_f16_e32 v3, v42, v46
	v_add_f16_e32 v2, v9, v2
	v_fma_f16 v9, v73, 0x3abb, -v93
	v_add_f16_e32 v15, v13, v15
	v_fma_f16 v46, v68, 0xb93d, -v100
	v_fmac_f16_e32 v19, 0xb853, v14
	v_add_f16_e32 v86, v13, v86
	v_add_f16_e32 v2, v9, v2
	v_fma_f16 v9, v82, 0xb93d, -v96
	v_fmamk_f16 v101, v68, 0xb93d, v100
	v_fmac_f16_e32 v76, 0x3482, v4
	v_mul_f16_e32 v103, 0x3beb, v71
	v_add_f16_e32 v14, v46, v15
	v_add_f16_e32 v2, v9, v2
	;; [unrolled: 1-line block ×3, first 2 shown]
	v_fma_f16 v10, v63, 0x3abb, -v62
	v_fma_f16 v15, v44, 0xbbad, -v102
	v_add_f16_e32 v19, v42, v19
	v_fmac_f16_e32 v54, 0xbb47, v4
	v_add_f16_e32 v86, v101, v86
	v_add_f16_e32 v4, v13, v10
	v_fma_f16 v10, v68, 0x36a6, -v57
	v_fmamk_f16 v101, v44, 0xbbad, v102
	v_add_f16_e32 v3, v76, v3
	v_fmac_f16_e32 v77, 0x3b47, v60
	v_mul_f16_e32 v6, 0xbbad, v72
	v_add_f16_e32 v13, v15, v14
	v_fma_f16 v14, v73, 0xb08e, -v103
	v_add_f16_e32 v15, v54, v19
	v_fmac_f16_e32 v47, 0xbbeb, v60
	v_add_f16_e32 v4, v10, v4
	v_fma_f16 v7, v44, 0xb08e, -v7
	v_add_f16_e32 v86, v101, v86
	v_fmamk_f16 v101, v73, 0xb08e, v103
	v_add_f16_e32 v3, v77, v3
	v_fmac_f16_e32 v69, 0xb853, v59
	v_fmamk_f16 v17, v65, 0x3482, v6
	v_add_f16_e32 v10, v14, v13
	v_add_f16_e32 v13, v47, v15
	v_fmac_f16_e32 v61, 0xba0c, v59
	v_add_f16_e32 v4, v7, v4
	v_fma_f16 v7, v73, 0xb93d, -v45
	v_mul_u32_u24_e32 v15, 0x2c0, v21
	v_add_f16_e32 v86, v101, v86
	v_fmamk_f16 v101, v82, 0x3abb, v105
	v_add_f16_e32 v3, v69, v3
	v_fmac_f16_e32 v74, 0xba0c, v65
	v_fmac_f16_e32 v99, 0x3853, v65
	v_fma_f16 v14, v82, 0x3abb, -v105
	v_add_f16_e32 v17, v17, v48
	v_add_f16_e32 v5, v51, v5
	;; [unrolled: 1-line block ×3, first 2 shown]
	v_fmac_f16_e32 v6, 0xb482, v65
	v_add_f16_e32 v4, v7, v4
	v_fma_f16 v7, v82, 0xbbad, -v43
	v_or_b32_e32 v15, v15, v41
	v_add_f16_e32 v86, v101, v86
	v_add_f16_e32 v3, v74, v3
	;; [unrolled: 1-line block ×6, first 2 shown]
	v_lshlrev_b32_e32 v7, 2, v15
	v_pack_b32_f16 v0, v5, v0
	v_pack_b32_f16 v1, v1, v17
	v_pack_b32_f16 v5, v86, v67
	v_pack_b32_f16 v13, v83, v20
	v_pack_b32_f16 v12, v64, v12
	v_pack_b32_f16 v14, v49, v18
	v_pack_b32_f16 v15, v78, v75
	v_pack_b32_f16 v11, v16, v11
	v_pack_b32_f16 v2, v2, v3
	v_pack_b32_f16 v3, v10, v9
	v_pack_b32_f16 v4, v4, v6
	ds_store_2addr_stride64_b32 v7, v0, v1 offset1:1
	ds_store_2addr_stride64_b32 v7, v5, v13 offset0:2 offset1:3
	ds_store_2addr_stride64_b32 v7, v12, v14 offset0:4 offset1:5
	;; [unrolled: 1-line block ×4, first 2 shown]
	ds_store_b32 v7, v4 offset:2560
.LBB0_9:
	s_wait_alu 0xfffe
	s_or_b32 exec_lo, exec_lo, s2
	v_add_nc_u32_e32 v11, 0xa00, v39
	v_add_nc_u32_e32 v1, 0x500, v39
	;; [unrolled: 1-line block ×3, first 2 shown]
	global_wb scope:SCOPE_SE
	s_wait_dscnt 0x0
	s_barrier_signal -1
	s_barrier_wait -1
	global_inv scope:SCOPE_SE
	ds_load_2addr_b32 v[2:3], v39 offset1:176
	ds_load_2addr_b32 v[4:5], v11 offset0:64 offset1:240
	ds_load_2addr_b32 v[6:7], v1 offset0:32 offset1:208
	;; [unrolled: 1-line block ×3, first 2 shown]
	s_mov_b32 s8, 0x745d1746
	s_mov_b32 s9, 0x3f4745d1
	s_wait_dscnt 0x2
	v_lshrrev_b32_e32 v14, 16, v4
	v_lshrrev_b32_e32 v15, 16, v5
	v_mul_f16_e32 v20, v89, v4
	s_wait_dscnt 0x0
	v_lshrrev_b32_e32 v17, 16, v9
	v_lshrrev_b32_e32 v19, 16, v10
	v_mul_f16_e32 v21, v90, v5
	v_mul_f16_e32 v41, v88, v9
	;; [unrolled: 1-line block ×3, first 2 shown]
	v_fma_f16 v14, v22, v14, -v20
	v_mul_f16_e32 v20, v90, v15
	v_mul_f16_e32 v42, v87, v10
	v_fma_f16 v15, v79, v15, -v21
	v_mul_f16_e32 v21, v88, v17
	v_fma_f16 v17, v80, v17, -v41
	v_mul_f16_e32 v41, v87, v19
	v_lshrrev_b32_e32 v12, 16, v2
	v_lshrrev_b32_e32 v13, 16, v3
	v_fmac_f16_e32 v43, v22, v4
	v_fmac_f16_e32 v20, v79, v5
	v_lshrrev_b32_e32 v16, 16, v6
	v_lshrrev_b32_e32 v18, 16, v7
	v_fma_f16 v19, v81, v19, -v42
	v_fmac_f16_e32 v21, v80, v9
	v_fmac_f16_e32 v41, v81, v10
	v_sub_f16_e32 v4, v12, v14
	v_sub_f16_e32 v5, v13, v15
	;; [unrolled: 1-line block ×8, first 2 shown]
	v_fma_f16 v12, v12, 2.0, -v4
	v_fma_f16 v2, v2, 2.0, -v14
	;; [unrolled: 1-line block ×8, first 2 shown]
	v_pack_b32_f16 v4, v14, v4
	v_pack_b32_f16 v2, v2, v12
	;; [unrolled: 1-line block ×5, first 2 shown]
	v_add_nc_u32_e32 v12, 0xd00, v39
	v_pack_b32_f16 v6, v6, v16
	v_pack_b32_f16 v7, v7, v18
	;; [unrolled: 1-line block ×3, first 2 shown]
	ds_store_b32 v39, v4 offset:2816
	ds_store_2addr_b32 v39, v2, v3 offset1:176
	ds_store_2addr_b32 v12, v5, v9 offset0:48 offset1:224
	ds_store_2addr_b32 v1, v6, v7 offset0:32 offset1:208
	ds_store_b32 v39, v10 offset:4928
	global_wb scope:SCOPE_SE
	s_wait_dscnt 0x0
	s_barrier_signal -1
	s_barrier_wait -1
	global_inv scope:SCOPE_SE
	ds_load_2addr_b32 v[2:3], v39 offset1:176
	ds_load_2addr_b32 v[4:5], v11 offset0:64 offset1:240
	v_mad_co_u64_u32 v[19:20], null, s4, v32, 0
	s_wait_dscnt 0x1
	v_lshrrev_b32_e32 v6, 16, v2
	v_mul_f16_e32 v7, v40, v2
	s_wait_dscnt 0x0
	v_lshrrev_b32_e32 v9, 16, v4
	v_mul_f16_e32 v10, v38, v4
	v_lshrrev_b32_e32 v15, 16, v3
	v_mul_f16_e32 v11, v40, v6
	v_fma_f16 v7, v36, v6, -v7
	v_mul_f16_e32 v13, v38, v9
	v_fma_f16 v6, v35, v9, -v10
	s_delay_alu instid0(VALU_DEP_4) | instskip(NEXT) | instid1(VALU_DEP_4)
	v_fmac_f16_e32 v11, v36, v2
	v_cvt_f32_f16_e32 v7, v7
	s_delay_alu instid0(VALU_DEP_4) | instskip(NEXT) | instid1(VALU_DEP_4)
	v_fmac_f16_e32 v13, v35, v4
	v_cvt_f32_f16_e32 v2, v6
	s_delay_alu instid0(VALU_DEP_4) | instskip(NEXT) | instid1(VALU_DEP_4)
	v_cvt_f32_f16_e32 v11, v11
	v_cvt_f64_f32_e32 v[6:7], v7
	s_delay_alu instid0(VALU_DEP_4) | instskip(NEXT) | instid1(VALU_DEP_4)
	v_cvt_f32_f16_e32 v4, v13
	v_cvt_f64_f32_e32 v[9:10], v2
	v_mul_f16_e32 v2, v37, v15
	v_cvt_f64_f32_e32 v[11:12], v11
	s_delay_alu instid0(VALU_DEP_4) | instskip(SKIP_1) | instid1(VALU_DEP_4)
	v_cvt_f64_f32_e32 v[13:14], v4
	v_mul_f16_e32 v4, v37, v3
	v_fmac_f16_e32 v2, v34, v3
	s_delay_alu instid0(VALU_DEP_2) | instskip(NEXT) | instid1(VALU_DEP_2)
	v_fma_f16 v4, v34, v15, -v4
	v_cvt_f32_f16_e32 v2, v2
	v_mad_co_u64_u32 v[15:16], null, s6, v8, 0
	s_delay_alu instid0(VALU_DEP_3) | instskip(NEXT) | instid1(VALU_DEP_3)
	v_cvt_f32_f16_e32 v4, v4
	v_cvt_f64_f32_e32 v[2:3], v2
	s_delay_alu instid0(VALU_DEP_2) | instskip(NEXT) | instid1(VALU_DEP_4)
	v_cvt_f64_f32_e32 v[17:18], v4
	v_mov_b32_e32 v4, v16
	s_delay_alu instid0(VALU_DEP_1) | instskip(SKIP_2) | instid1(VALU_DEP_2)
	v_mad_co_u64_u32 v[21:22], null, s7, v8, v[4:5]
	v_mov_b32_e32 v4, v20
	v_lshrrev_b32_e32 v8, 16, v5
	v_mad_co_u64_u32 v[34:35], null, s5, v32, v[4:5]
	s_delay_alu instid0(VALU_DEP_2)
	v_mul_f16_e32 v4, v33, v8
	s_wait_alu 0xfffe
	v_mul_f64_e32 v[6:7], s[8:9], v[6:7]
	v_mul_f64_e32 v[9:10], s[8:9], v[9:10]
	;; [unrolled: 1-line block ×3, first 2 shown]
	v_fmac_f16_e32 v4, v31, v5
	v_mul_f64_e32 v[13:14], s[8:9], v[13:14]
	v_mul_f16_e32 v5, v33, v5
	s_delay_alu instid0(VALU_DEP_3) | instskip(NEXT) | instid1(VALU_DEP_2)
	v_cvt_f32_f16_e32 v4, v4
	v_fma_f16 v5, v31, v8, -v5
	v_mul_f64_e32 v[2:3], s[8:9], v[2:3]
	v_mul_f64_e32 v[17:18], s[8:9], v[17:18]
	v_bfe_u32 v32, v7, 20, 11
	v_bfe_u32 v35, v10, 20, 11
	v_mov_b32_e32 v16, v21
	v_and_or_b32 v9, 0x1ff, v10, v9
	v_and_or_b32 v11, 0x1ff, v12, v11
	v_and_or_b32 v13, 0x1ff, v14, v13
	v_sub_nc_u32_e32 v41, 0x3f1, v35
	v_add_nc_u32_e32 v35, 0xfffffc10, v35
	v_lshlrev_b64_e32 v[15:16], 2, v[15:16]
	v_lshrrev_b32_e32 v36, 8, v12
	v_bfe_u32 v37, v12, 20, 11
	v_mov_b32_e32 v20, v34
	v_lshrrev_b32_e32 v34, 8, v10
	v_sub_nc_u32_e32 v38, 0x3f1, v32
	v_add_co_u32 v21, vcc_lo, s0, v15
	s_wait_alu 0xfffd
	v_add_co_ci_u32_e32 v22, vcc_lo, s1, v16, vcc_lo
	v_cvt_f64_f32_e32 v[15:16], v4
	v_and_or_b32 v4, 0x1ff, v7, v6
	v_lshrrev_b32_e32 v6, 8, v7
	v_and_or_b32 v2, 0x1ff, v3, v2
	v_add_nc_u32_e32 v32, 0xfffffc10, v32
	v_lshrrev_b32_e32 v39, 8, v14
	v_cmp_ne_u32_e32 vcc_lo, 0, v4
	v_sub_nc_u32_e32 v44, 0x3f1, v37
	v_bfe_u32 v40, v14, 20, 11
	v_add_nc_u32_e32 v37, 0xfffffc10, v37
	v_lshrrev_b32_e32 v12, 16, v12
	s_wait_alu 0xfffd
	v_cndmask_b32_e64 v4, 0, 1, vcc_lo
	v_cmp_ne_u32_e32 vcc_lo, 0, v9
	v_lshrrev_b32_e32 v7, 16, v7
	v_lshrrev_b32_e32 v42, 8, v3
	v_bfe_u32 v43, v3, 20, 11
	v_and_or_b32 v4, 0xffe, v6, v4
	s_wait_alu 0xfffd
	v_cndmask_b32_e64 v9, 0, 1, vcc_lo
	v_cmp_ne_u32_e32 vcc_lo, 0, v11
	v_med3_i32 v6, v38, 0, 13
	v_sub_nc_u32_e32 v38, 0x3f1, v40
	v_add_nc_u32_e32 v40, 0xfffffc10, v40
	v_and_or_b32 v9, 0xffe, v34, v9
	s_wait_alu 0xfffd
	v_cndmask_b32_e64 v11, 0, 1, vcc_lo
	v_cmp_ne_u32_e32 vcc_lo, 0, v13
	v_med3_i32 v34, v41, 0, 13
	v_or_b32_e32 v41, 0x1000, v4
	v_med3_i32 v38, v38, 0, 13
	v_and_or_b32 v11, 0xffe, v36, v11
	s_wait_alu 0xfffd
	v_cndmask_b32_e64 v13, 0, 1, vcc_lo
	v_cmp_ne_u32_e32 vcc_lo, 0, v2
	v_med3_i32 v36, v44, 0, 13
	v_lshl_or_b32 v44, v32, 12, v4
	v_or_b32_e32 v46, 0x1000, v11
	v_and_or_b32 v13, 0xffe, v39, v13
	s_wait_alu 0xfffd
	v_cndmask_b32_e64 v2, 0, 1, vcc_lo
	v_cmp_ne_u32_e32 vcc_lo, 0, v4
	v_lshrrev_b32_e32 v48, v6, v41
	v_or_b32_e32 v39, 0x1000, v9
	v_lshl_or_b32 v47, v37, 12, v11
	v_lshrrev_b32_e32 v51, v36, v46
	s_wait_alu 0xfffd
	v_cndmask_b32_e64 v4, 0, 1, vcc_lo
	v_cmp_ne_u32_e32 vcc_lo, 0, v11
	v_lshlrev_b32_e32 v6, v6, v48
	v_or_b32_e32 v49, 0x1000, v13
	v_lshl_or_b32 v50, v40, 12, v13
	v_lshrrev_b32_e32 v52, v34, v39
	s_wait_alu 0xfffd
	v_cndmask_b32_e64 v11, 0, 1, vcc_lo
	v_cmp_ne_u32_e32 vcc_lo, 0, v13
	v_lshlrev_b32_e32 v36, v36, v51
	v_lshrrev_b32_e32 v53, v38, v49
	v_lshlrev_b32_e32 v34, v34, v52
	v_lshl_or_b32 v45, v35, 12, v9
	s_wait_alu 0xfffd
	v_cndmask_b32_e64 v13, 0, 1, vcc_lo
	v_cmp_ne_u32_e32 vcc_lo, v6, v41
	v_lshlrev_b32_e32 v38, v38, v53
	v_lshl_or_b32 v11, v11, 9, 0x7c00
	v_lshl_or_b32 v4, v4, 9, 0x7c00
	v_and_or_b32 v17, 0x1ff, v18, v17
	s_wait_alu 0xfffd
	v_cndmask_b32_e64 v6, 0, 1, vcc_lo
	v_cmp_ne_u32_e32 vcc_lo, v36, v46
	v_lshrrev_b32_e32 v10, 16, v10
	v_lshrrev_b32_e32 v3, 16, v3
	s_delay_alu instid0(VALU_DEP_4) | instskip(SKIP_3) | instid1(VALU_DEP_2)
	v_or_b32_e32 v6, v48, v6
	s_wait_alu 0xfffd
	v_cndmask_b32_e64 v36, 0, 1, vcc_lo
	v_cmp_ne_u32_e32 vcc_lo, v34, v39
	v_or_b32_e32 v36, v51, v36
	s_wait_alu 0xfffd
	v_cndmask_b32_e64 v34, 0, 1, vcc_lo
	v_cmp_ne_u32_e32 vcc_lo, v38, v49
	s_delay_alu instid0(VALU_DEP_2) | instskip(SKIP_3) | instid1(VALU_DEP_2)
	v_or_b32_e32 v34, v52, v34
	s_wait_alu 0xfffd
	v_cndmask_b32_e64 v38, 0, 1, vcc_lo
	v_cmp_gt_i32_e32 vcc_lo, 1, v37
	v_or_b32_e32 v38, v53, v38
	s_wait_alu 0xfffd
	v_cndmask_b32_e32 v36, v47, v36, vcc_lo
	v_cmp_gt_i32_e32 vcc_lo, 1, v32
	s_wait_alu 0xfffd
	v_cndmask_b32_e32 v6, v44, v6, vcc_lo
	v_cmp_gt_i32_e32 vcc_lo, 1, v35
	s_delay_alu instid0(VALU_DEP_2)
	v_and_b32_e32 v41, 7, v6
	s_wait_alu 0xfffd
	v_dual_cndmask_b32 v34, v45, v34 :: v_dual_and_b32 v39, 7, v36
	v_cmp_gt_i32_e32 vcc_lo, 1, v40
	v_lshrrev_b32_e32 v36, 2, v36
	v_cmp_lt_i32_e64 s1, 5, v41
	s_delay_alu instid0(VALU_DEP_4)
	v_cmp_eq_u32_e64 s0, 3, v39
	v_cmp_eq_u32_e64 s2, 3, v41
	s_wait_alu 0xfffd
	v_cndmask_b32_e32 v38, v50, v38, vcc_lo
	v_cmp_lt_i32_e32 vcc_lo, 5, v39
	v_lshrrev_b32_e32 v6, 2, v6
	s_or_b32 vcc_lo, s0, vcc_lo
	v_cmp_gt_i32_e64 s0, 31, v32
	s_wait_alu 0xfffe
	v_add_co_ci_u32_e32 v36, vcc_lo, 0, v36, vcc_lo
	s_or_b32 vcc_lo, s2, s1
	v_cmp_eq_u32_e64 s1, 0x40f, v32
	s_wait_alu 0xfffe
	v_add_co_ci_u32_e32 v6, vcc_lo, 0, v6, vcc_lo
	v_cmp_gt_i32_e32 vcc_lo, 31, v37
	v_and_b32_e32 v39, 7, v38
	v_and_or_b32 v32, 0xffe, v42, v2
	s_delay_alu instid0(VALU_DEP_4)
	v_cndmask_b32_e64 v6, 0x7c00, v6, s0
	v_cmp_eq_u32_e64 s0, 0x40f, v37
	s_wait_alu 0xfffd
	v_cndmask_b32_e32 v36, 0x7c00, v36, vcc_lo
	v_cmp_lt_i32_e32 vcc_lo, 5, v39
	v_sub_nc_u32_e32 v2, 0x3f1, v43
	s_wait_alu 0xf1ff
	v_cndmask_b32_e64 v4, v6, v4, s1
	s_mul_u64 s[2:3], s[4:5], 0xb00
	v_cndmask_b32_e64 v11, v36, v11, s0
	v_cmp_eq_u32_e64 s0, 3, v39
	v_lshrrev_b32_e32 v36, 2, v38
	v_and_or_b32 v4, 0x8000, v7, v4
	v_lshl_or_b32 v7, v13, 9, 0x7c00
	v_and_or_b32 v6, 0x8000, v12, v11
	s_or_b32 vcc_lo, s0, vcc_lo
	v_med3_i32 v2, v2, 0, 13
	s_wait_alu 0xfffe
	v_add_co_ci_u32_e32 v11, vcc_lo, 0, v36, vcc_lo
	v_cmp_gt_i32_e32 vcc_lo, 31, v40
	v_and_b32_e32 v6, 0xffff, v6
	s_wait_alu 0xfffd
	s_delay_alu instid0(VALU_DEP_3) | instskip(SKIP_1) | instid1(VALU_DEP_3)
	v_cndmask_b32_e32 v11, 0x7c00, v11, vcc_lo
	v_cmp_eq_u32_e32 vcc_lo, 0x40f, v40
	v_lshl_or_b32 v13, v4, 16, v6
	s_wait_alu 0xfffd
	s_delay_alu instid0(VALU_DEP_3) | instskip(SKIP_4) | instid1(VALU_DEP_4)
	v_cndmask_b32_e32 v4, v11, v7, vcc_lo
	v_lshrrev_b32_e32 v11, 16, v14
	v_or_b32_e32 v14, 0x1000, v32
	v_lshlrev_b64_e32 v[6:7], 2, v[19:20]
	v_add_nc_u32_e32 v20, 0xfffffc10, v43
	v_and_or_b32 v11, 0x8000, v11, v4
	s_delay_alu instid0(VALU_DEP_4) | instskip(NEXT) | instid1(VALU_DEP_2)
	v_lshrrev_b32_e32 v4, v2, v14
	v_and_b32_e32 v11, 0xffff, v11
	v_and_b32_e32 v12, 7, v34
	s_delay_alu instid0(VALU_DEP_3) | instskip(NEXT) | instid1(VALU_DEP_2)
	v_lshlrev_b32_e32 v2, v2, v4
	v_cmp_lt_i32_e32 vcc_lo, 5, v12
	v_cmp_eq_u32_e64 s0, 3, v12
	v_lshrrev_b32_e32 v12, 2, v34
	s_delay_alu instid0(VALU_DEP_2) | instskip(SKIP_1) | instid1(VALU_DEP_1)
	s_or_b32 vcc_lo, s0, vcc_lo
	s_wait_alu 0xfffe
	v_add_co_ci_u32_e32 v12, vcc_lo, 0, v12, vcc_lo
	v_cmp_ne_u32_e32 vcc_lo, 0, v9
	s_wait_alu 0xfffd
	v_cndmask_b32_e64 v9, 0, 1, vcc_lo
	v_cmp_gt_i32_e32 vcc_lo, 31, v35
	s_delay_alu instid0(VALU_DEP_2)
	v_lshl_or_b32 v19, v9, 9, 0x7c00
	s_wait_alu 0xfffd
	v_cndmask_b32_e32 v12, 0x7c00, v12, vcc_lo
	v_cmp_ne_u32_e32 vcc_lo, v2, v14
	v_lshrrev_b32_e32 v9, 8, v18
	v_bfe_u32 v14, v18, 20, 11
	s_wait_alu 0xfffd
	v_cndmask_b32_e64 v2, 0, 1, vcc_lo
	v_cmp_ne_u32_e32 vcc_lo, 0, v17
	v_cvt_f32_f16_e32 v17, v5
	v_sub_nc_u32_e32 v33, 0x3f1, v14
	s_delay_alu instid0(VALU_DEP_4)
	v_or_b32_e32 v2, v4, v2
	s_wait_alu 0xfffd
	v_cndmask_b32_e64 v8, 0, 1, vcc_lo
	v_mul_f64_e32 v[4:5], s[8:9], v[15:16]
	v_cmp_eq_u32_e32 vcc_lo, 0x40f, v35
	v_lshl_or_b32 v15, v20, 12, v32
	s_delay_alu instid0(VALU_DEP_4)
	v_and_or_b32 v31, 0xffe, v9, v8
	v_cvt_f64_f32_e32 v[8:9], v17
	v_med3_i32 v17, v33, 0, 13
	s_wait_alu 0xfffd
	v_cndmask_b32_e32 v12, v12, v19, vcc_lo
	v_cmp_gt_i32_e32 vcc_lo, 1, v20
	v_or_b32_e32 v16, 0x1000, v31
	s_delay_alu instid0(VALU_DEP_3) | instskip(SKIP_2) | instid1(VALU_DEP_3)
	v_and_or_b32 v10, 0x8000, v10, v12
	s_wait_alu 0xfffd
	v_cndmask_b32_e32 v15, v15, v2, vcc_lo
	v_lshrrev_b32_e32 v19, v17, v16
	v_add_co_u32 v6, vcc_lo, v21, v6
	ds_load_2addr_b32 v[1:2], v1 offset0:32 offset1:208
	v_and_b32_e32 v12, 7, v15
	v_lshlrev_b32_e32 v17, v17, v19
	s_wait_alu 0xfffd
	v_add_co_ci_u32_e32 v7, vcc_lo, v22, v7, vcc_lo
	v_lshl_or_b32 v21, v10, 16, v11
	v_cmp_lt_i32_e32 vcc_lo, 5, v12
	v_cmp_ne_u32_e64 s0, v17, v16
	v_lshrrev_b32_e32 v11, 2, v15
	global_store_b32 v[6:7], v13, off
	v_add_nc_u32_e32 v13, 0xfffffc10, v14
	s_wait_alu 0xf1ff
	v_cndmask_b32_e64 v10, 0, 1, s0
	v_cmp_eq_u32_e64 s0, 3, v12
	s_delay_alu instid0(VALU_DEP_3) | instskip(NEXT) | instid1(VALU_DEP_3)
	v_lshl_or_b32 v12, v13, 12, v31
	v_or_b32_e32 v10, v19, v10
	s_delay_alu instid0(VALU_DEP_3)
	s_or_b32 vcc_lo, s0, vcc_lo
	s_wait_alu 0xfffe
	v_add_co_ci_u32_e32 v11, vcc_lo, 0, v11, vcc_lo
	v_cmp_ne_u32_e32 vcc_lo, 0, v32
	v_and_or_b32 v4, 0x1ff, v5, v4
	v_lshrrev_b32_e32 v17, 8, v5
	v_bfe_u32 v19, v5, 20, 11
	v_mul_f64_e32 v[8:9], s[8:9], v[8:9]
	s_wait_alu 0xfffd
	v_cndmask_b32_e64 v14, 0, 1, vcc_lo
	v_cmp_gt_i32_e32 vcc_lo, 1, v13
	v_lshrrev_b32_e32 v5, 16, v5
	s_delay_alu instid0(VALU_DEP_3)
	v_lshl_or_b32 v14, v14, 9, 0x7c00
	s_wait_alu 0xfffd
	v_cndmask_b32_e32 v10, v12, v10, vcc_lo
	s_wait_dscnt 0x0
	v_lshrrev_b32_e32 v12, 16, v1
	v_cmp_gt_i32_e32 vcc_lo, 31, v20
	s_delay_alu instid0(VALU_DEP_3) | instskip(NEXT) | instid1(VALU_DEP_3)
	v_and_b32_e32 v15, 7, v10
	v_mul_f16_e32 v16, v30, v12
	s_wait_alu 0xfffd
	v_cndmask_b32_e32 v11, 0x7c00, v11, vcc_lo
	v_cmp_ne_u32_e32 vcc_lo, 0, v4
	v_cmp_eq_u32_e64 s0, 3, v15
	v_fmac_f16_e32 v16, v29, v1
	v_mul_f16_e32 v1, v30, v1
	s_wait_alu 0xfffd
	v_cndmask_b32_e64 v4, 0, 1, vcc_lo
	v_cmp_eq_u32_e32 vcc_lo, 0x40f, v20
	s_delay_alu instid0(VALU_DEP_3) | instskip(NEXT) | instid1(VALU_DEP_3)
	v_fma_f16 v1, v29, v12, -v1
	v_and_or_b32 v17, 0xffe, v17, v4
	s_wait_alu 0xfffd
	v_cndmask_b32_e32 v14, v11, v14, vcc_lo
	v_cmp_lt_i32_e32 vcc_lo, 5, v15
	v_cvt_f32_f16_e32 v4, v16
	v_lshrrev_b32_e32 v15, 2, v10
	v_sub_nc_u32_e32 v16, 0x3f1, v19
	v_or_b32_e32 v20, 0x1000, v17
	s_or_b32 vcc_lo, s0, vcc_lo
	v_cvt_f64_f32_e32 v[10:11], v4
	s_wait_alu 0xfffe
	v_add_co_ci_u32_e32 v15, vcc_lo, 0, v15, vcc_lo
	v_med3_i32 v4, v16, 0, 13
	v_cmp_ne_u32_e32 vcc_lo, 0, v31
	v_and_or_b32 v14, 0x8000, v3, v14
	v_cvt_f32_f16_e32 v1, v1
	s_movk_i32 s0, 0xf7c0
	v_lshrrev_b32_e32 v22, v4, v20
	s_wait_alu 0xfffd
	v_cndmask_b32_e64 v16, 0, 1, vcc_lo
	v_cmp_gt_i32_e32 vcc_lo, 31, v13
	v_and_b32_e32 v14, 0xffff, v14
	s_mov_b32 s1, -1
	v_lshlrev_b32_e32 v3, v4, v22
	v_lshl_or_b32 v16, v16, 9, 0x7c00
	s_wait_alu 0xfffd
	v_cndmask_b32_e32 v15, 0x7c00, v15, vcc_lo
	v_cmp_eq_u32_e32 vcc_lo, 0x40f, v13
	v_and_or_b32 v4, 0x1ff, v9, v8
	v_add_nc_u32_e32 v8, 0xfffffc10, v19
	s_wait_alu 0xfffe
	s_mul_u64 s[4:5], s[4:5], s[0:1]
	s_wait_alu 0xfffd
	v_cndmask_b32_e32 v13, v15, v16, vcc_lo
	v_cmp_ne_u32_e32 vcc_lo, v3, v20
	v_lshrrev_b32_e32 v15, 16, v18
	v_lshrrev_b32_e32 v16, 8, v9
	v_bfe_u32 v18, v9, 20, 11
	v_lshl_or_b32 v20, v8, 12, v17
	s_wait_alu 0xfffd
	v_cndmask_b32_e64 v3, 0, 1, vcc_lo
	v_cmp_ne_u32_e32 vcc_lo, 0, v4
	v_and_or_b32 v13, 0x8000, v15, v13
	s_delay_alu instid0(VALU_DEP_3)
	v_or_b32_e32 v19, v22, v3
	v_cvt_f64_f32_e32 v[3:4], v1
	s_wait_alu 0xfffd
	v_cndmask_b32_e64 v12, 0, 1, vcc_lo
	ds_load_2addr_b32 v[0:1], v0 offset0:32 offset1:208
	v_cmp_gt_i32_e32 vcc_lo, 1, v8
	v_lshl_or_b32 v29, v13, 16, v14
	v_mul_f64_e32 v[10:11], s[8:9], v[10:11]
	v_and_or_b32 v16, 0xffe, v16, v12
	v_sub_nc_u32_e32 v12, 0x3f1, v18
	s_wait_alu 0xfffd
	v_cndmask_b32_e32 v19, v20, v19, vcc_lo
	v_add_co_u32 v6, vcc_lo, v6, s2
	v_or_b32_e32 v20, 0x1000, v16
	v_med3_i32 v12, v12, 0, 13
	s_delay_alu instid0(VALU_DEP_4)
	v_and_b32_e32 v15, 7, v19
	s_wait_alu 0xfffd
	v_add_co_ci_u32_e32 v7, vcc_lo, s3, v7, vcc_lo
	v_lshrrev_b32_e32 v13, 2, v19
	v_lshrrev_b32_e32 v22, v12, v20
	v_cmp_lt_i32_e32 vcc_lo, 5, v15
	v_cmp_eq_u32_e64 s0, 3, v15
	v_add_nc_u32_e32 v18, 0xfffffc10, v18
	s_delay_alu instid0(VALU_DEP_4)
	v_lshlrev_b32_e32 v12, v12, v22
	s_wait_dscnt 0x0
	v_lshrrev_b32_e32 v30, 16, v0
	s_or_b32 vcc_lo, s0, vcc_lo
	v_lshl_or_b32 v15, v18, 12, v16
	s_wait_alu 0xfffe
	v_add_co_ci_u32_e32 v13, vcc_lo, 0, v13, vcc_lo
	v_cmp_ne_u32_e64 s1, v12, v20
	v_mul_f16_e32 v14, v28, v30
	v_cmp_ne_u32_e32 vcc_lo, 0, v17
	s_wait_alu 0xf1ff
	s_delay_alu instid0(VALU_DEP_3) | instskip(NEXT) | instid1(VALU_DEP_3)
	v_cndmask_b32_e64 v12, 0, 1, s1
	v_fmac_f16_e32 v14, v27, v0
	s_wait_alu 0xfffd
	v_cndmask_b32_e64 v17, 0, 1, vcc_lo
	v_cmp_gt_i32_e32 vcc_lo, 1, v18
	v_mul_f16_e32 v0, v28, v0
	v_or_b32_e32 v12, v22, v12
	v_mul_f64_e32 v[3:4], s[8:9], v[3:4]
	v_lshl_or_b32 v17, v17, 9, 0x7c00
	s_delay_alu instid0(VALU_DEP_4)
	v_fma_f16 v0, v27, v30, -v0
	s_wait_alu 0xfffd
	v_cndmask_b32_e32 v19, v15, v12, vcc_lo
	v_cvt_f32_f16_e32 v12, v14
	v_cmp_gt_i32_e32 vcc_lo, 31, v8
	v_and_or_b32 v10, 0x1ff, v11, v10
	v_cvt_f32_f16_e32 v0, v0
	v_and_b32_e32 v22, 7, v19
	v_lshrrev_b32_e32 v19, 2, v19
	s_wait_alu 0xfffd
	v_cndmask_b32_e32 v20, 0x7c00, v13, vcc_lo
	v_cvt_f64_f32_e32 v[12:13], v12
	v_add_co_u32 v14, vcc_lo, v6, s4
	s_wait_alu 0xfffd
	v_add_co_ci_u32_e32 v15, vcc_lo, s5, v7, vcc_lo
	v_cmp_eq_u32_e32 vcc_lo, 0x40f, v8
	v_cmp_ne_u32_e64 s0, 0, v10
	s_clause 0x1
	global_store_b32 v[6:7], v21, off
	global_store_b32 v[14:15], v29, off
	s_wait_alu 0xfffd
	v_cndmask_b32_e32 v8, v20, v17, vcc_lo
	v_cmp_lt_i32_e32 vcc_lo, 5, v22
	s_wait_alu 0xf1ff
	v_cndmask_b32_e64 v10, 0, 1, s0
	v_cmp_eq_u32_e64 s0, 3, v22
	v_lshrrev_b32_e32 v17, 8, v11
	v_bfe_u32 v20, v11, 20, 11
	v_and_or_b32 v5, 0x8000, v5, v8
	v_lshrrev_b32_e32 v11, 16, v11
	s_or_b32 vcc_lo, s0, vcc_lo
	v_and_or_b32 v10, 0xffe, v17, v10
	s_wait_alu 0xfffe
	v_add_co_ci_u32_e32 v19, vcc_lo, 0, v19, vcc_lo
	v_sub_nc_u32_e32 v17, 0x3f1, v20
	v_cmp_ne_u32_e32 vcc_lo, 0, v16
	v_or_b32_e32 v22, 0x1000, v10
	v_and_b32_e32 v5, 0xffff, v5
	v_and_or_b32 v3, 0x1ff, v4, v3
	v_med3_i32 v17, v17, 0, 13
	s_wait_alu 0xfffd
	v_cndmask_b32_e64 v16, 0, 1, vcc_lo
	v_cmp_gt_i32_e32 vcc_lo, 31, v18
	v_bfe_u32 v28, v4, 20, 11
	v_lshrrev_b32_e32 v31, v17, v22
	s_delay_alu instid0(VALU_DEP_4)
	v_lshl_or_b32 v16, v16, 9, 0x7c00
	s_wait_alu 0xfffd
	v_cndmask_b32_e32 v19, 0x7c00, v19, vcc_lo
	v_cmp_eq_u32_e32 vcc_lo, 0x40f, v18
	v_lshrrev_b32_e32 v18, 16, v9
	v_lshlrev_b32_e32 v17, v17, v31
	v_mul_f64_e32 v[8:9], s[8:9], v[12:13]
	s_wait_alu 0xfffd
	v_cndmask_b32_e32 v16, v19, v16, vcc_lo
	v_cmp_ne_u32_e32 vcc_lo, 0, v3
	v_lshrrev_b32_e32 v19, 8, v4
	v_lshrrev_b32_e32 v4, 16, v4
	s_delay_alu instid0(VALU_DEP_4)
	v_and_or_b32 v16, 0x8000, v18, v16
	s_wait_alu 0xfffd
	v_cndmask_b32_e64 v3, 0, 1, vcc_lo
	v_cmp_ne_u32_e32 vcc_lo, v17, v22
	v_add_nc_u32_e32 v17, 0xfffffc10, v20
	v_lshl_or_b32 v16, v16, 16, v5
	s_delay_alu instid0(VALU_DEP_4)
	v_and_or_b32 v3, 0xffe, v19, v3
	s_wait_alu 0xfffd
	v_cndmask_b32_e64 v12, 0, 1, vcc_lo
	v_sub_nc_u32_e32 v19, 0x3f1, v28
	v_lshl_or_b32 v22, v17, 12, v10
	v_cmp_gt_i32_e32 vcc_lo, 1, v17
	v_or_b32_e32 v27, 0x1000, v3
	v_or_b32_e32 v20, v31, v12
	v_cvt_f64_f32_e32 v[12:13], v0
	v_med3_i32 v0, v19, 0, 13
	v_cmp_eq_u32_e64 s1, 0x40f, v17
	s_wait_alu 0xfffd
	v_cndmask_b32_e32 v18, v22, v20, vcc_lo
	v_add_co_u32 v5, vcc_lo, v14, s2
	v_lshrrev_b32_e32 v19, v0, v27
	v_lshrrev_b32_e32 v14, 16, v2
	s_delay_alu instid0(VALU_DEP_4)
	v_and_b32_e32 v7, 7, v18
	s_wait_alu 0xfffd
	v_add_co_ci_u32_e32 v6, vcc_lo, s3, v15, vcc_lo
	v_lshlrev_b32_e32 v0, v0, v19
	v_add_nc_u32_e32 v15, 0xfffffc10, v28
	v_cmp_lt_i32_e32 vcc_lo, 5, v7
	v_mul_f16_e32 v20, v26, v14
	s_delay_alu instid0(VALU_DEP_4) | instskip(SKIP_2) | instid1(VALU_DEP_4)
	v_cmp_ne_u32_e64 s0, v0, v27
	v_and_or_b32 v8, 0x1ff, v9, v8
	v_bfe_u32 v21, v9, 20, 11
	v_fmac_f16_e32 v20, v25, v2
	s_wait_alu 0xf1ff
	v_cndmask_b32_e64 v0, 0, 1, s0
	v_cmp_eq_u32_e64 s0, 3, v7
	v_lshrrev_b32_e32 v7, 2, v18
	v_lshl_or_b32 v18, v15, 12, v3
	s_delay_alu instid0(VALU_DEP_4) | instskip(NEXT) | instid1(VALU_DEP_4)
	v_or_b32_e32 v0, v19, v0
	s_or_b32 vcc_lo, s0, vcc_lo
	s_wait_alu 0xfffe
	v_add_co_ci_u32_e32 v19, vcc_lo, 0, v7, vcc_lo
	v_cmp_gt_i32_e32 vcc_lo, 1, v15
	v_cvt_f32_f16_e32 v7, v20
	v_lshrrev_b32_e32 v20, 8, v9
	v_lshrrev_b32_e32 v9, 16, v9
	s_wait_alu 0xfffd
	v_cndmask_b32_e32 v0, v18, v0, vcc_lo
	v_cmp_ne_u32_e32 vcc_lo, 0, v8
	v_cvt_f64_f32_e32 v[7:8], v7
	v_mul_f64_e32 v[12:13], s[8:9], v[12:13]
	s_delay_alu instid0(VALU_DEP_4)
	v_and_b32_e32 v22, 7, v0
	s_wait_alu 0xfffd
	v_cndmask_b32_e64 v18, 0, 1, vcc_lo
	v_cmp_ne_u32_e32 vcc_lo, 0, v10
	v_lshrrev_b32_e32 v0, 2, v0
	v_cmp_eq_u32_e64 s0, 3, v22
	s_delay_alu instid0(VALU_DEP_4)
	v_and_or_b32 v18, 0xffe, v20, v18
	s_wait_alu 0xfffd
	v_cndmask_b32_e64 v10, 0, 1, vcc_lo
	v_cmp_gt_i32_e32 vcc_lo, 31, v17
	v_sub_nc_u32_e32 v20, 0x3f1, v21
	v_or_b32_e32 v27, 0x1000, v18
	s_delay_alu instid0(VALU_DEP_4) | instskip(SKIP_4) | instid1(VALU_DEP_3)
	v_lshl_or_b32 v10, v10, 9, 0x7c00
	s_wait_alu 0xfffd
	v_cndmask_b32_e32 v19, 0x7c00, v19, vcc_lo
	v_cmp_lt_i32_e32 vcc_lo, 5, v22
	v_med3_i32 v20, v20, 0, 13
	v_cndmask_b32_e64 v10, v19, v10, s1
	s_or_b32 vcc_lo, s0, vcc_lo
	s_delay_alu instid0(VALU_DEP_2)
	v_lshrrev_b32_e32 v17, v20, v27
	s_wait_alu 0xfffe
	v_add_co_ci_u32_e32 v0, vcc_lo, 0, v0, vcc_lo
	v_cmp_ne_u32_e32 vcc_lo, 0, v3
	v_and_or_b32 v10, 0x8000, v11, v10
	v_lshlrev_b32_e32 v19, v20, v17
	v_add_nc_u32_e32 v20, 0xfffffc10, v21
	s_wait_alu 0xfffd
	v_cndmask_b32_e64 v3, 0, 1, vcc_lo
	v_cmp_gt_i32_e32 vcc_lo, 31, v15
	v_and_b32_e32 v10, 0xffff, v10
	s_delay_alu instid0(VALU_DEP_3)
	v_lshl_or_b32 v3, v3, 9, 0x7c00
	s_wait_alu 0xfffd
	v_cndmask_b32_e32 v0, 0x7c00, v0, vcc_lo
	v_cmp_ne_u32_e32 vcc_lo, v19, v27
	s_wait_alu 0xfffd
	v_cndmask_b32_e64 v19, 0, 1, vcc_lo
	v_cmp_eq_u32_e32 vcc_lo, 0x40f, v15
	v_mul_f16_e32 v15, v26, v2
	s_delay_alu instid0(VALU_DEP_3)
	v_or_b32_e32 v11, v17, v19
	s_wait_alu 0xfffd
	v_cndmask_b32_e32 v0, v0, v3, vcc_lo
	v_mul_f64_e32 v[2:3], s[8:9], v[7:8]
	v_lshl_or_b32 v7, v20, 12, v18
	v_and_or_b32 v8, 0x1ff, v13, v12
	v_cmp_gt_i32_e32 vcc_lo, 1, v20
	v_fma_f16 v12, v25, v14, -v15
	v_bfe_u32 v15, v13, 20, 11
	v_and_or_b32 v0, 0x8000, v4, v0
	v_lshrrev_b32_e32 v17, 16, v1
	s_wait_alu 0xfffd
	v_cndmask_b32_e32 v11, v7, v11, vcc_lo
	v_cmp_ne_u32_e32 vcc_lo, 0, v8
	v_cvt_f32_f16_e32 v7, v12
	v_lshrrev_b32_e32 v12, 8, v13
	v_mul_f16_e32 v21, v24, v17
	v_and_b32_e32 v4, 7, v11
	s_wait_alu 0xfffd
	v_cndmask_b32_e64 v14, 0, 1, vcc_lo
	v_cvt_f64_f32_e32 v[7:8], v7
	v_fmac_f16_e32 v21, v23, v1
	v_cmp_lt_i32_e32 vcc_lo, 5, v4
	s_delay_alu instid0(VALU_DEP_4)
	v_and_or_b32 v12, 0xffe, v12, v14
	v_sub_nc_u32_e32 v14, 0x3f1, v15
	v_cmp_eq_u32_e64 s0, 3, v4
	v_lshl_or_b32 v4, v0, 16, v10
	v_lshrrev_b32_e32 v0, 2, v11
	v_or_b32_e32 v19, 0x1000, v12
	v_med3_i32 v14, v14, 0, 13
	s_or_b32 vcc_lo, s0, vcc_lo
	v_cvt_f32_f16_e32 v11, v21
	s_wait_alu 0xfffe
	v_add_co_ci_u32_e32 v0, vcc_lo, 0, v0, vcc_lo
	v_lshrrev_b32_e32 v22, v14, v19
	v_cmp_ne_u32_e32 vcc_lo, 0, v18
	v_mul_f16_e32 v1, v24, v1
	s_delay_alu instid0(VALU_DEP_3) | instskip(SKIP_3) | instid1(VALU_DEP_2)
	v_lshlrev_b32_e32 v14, v14, v22
	s_wait_alu 0xfffd
	v_cndmask_b32_e64 v10, 0, 1, vcc_lo
	v_cmp_gt_i32_e32 vcc_lo, 31, v20
	v_lshl_or_b32 v21, v10, 9, 0x7c00
	s_wait_alu 0xfffd
	v_cndmask_b32_e32 v18, 0x7c00, v0, vcc_lo
	v_and_or_b32 v0, 0x1ff, v3, v2
	v_cmp_ne_u32_e32 vcc_lo, v14, v19
	v_cvt_f64_f32_e32 v[10:11], v11
	v_add_nc_u32_e32 v19, 0xfffffc10, v15
	v_lshrrev_b32_e32 v14, 8, v3
	v_fma_f16 v15, v23, v17, -v1
	s_wait_alu 0xfffd
	v_cndmask_b32_e64 v2, 0, 1, vcc_lo
	v_cmp_ne_u32_e32 vcc_lo, 0, v0
	v_lshl_or_b32 v17, v19, 12, v12
	s_delay_alu instid0(VALU_DEP_3)
	v_or_b32_e32 v2, v22, v2
	s_wait_alu 0xfffd
	v_cndmask_b32_e64 v0, 0, 1, vcc_lo
	v_bfe_u32 v22, v3, 20, 11
	v_cmp_gt_i32_e32 vcc_lo, 1, v19
	v_lshrrev_b32_e32 v3, 16, v3
	s_delay_alu instid0(VALU_DEP_4)
	v_and_or_b32 v23, 0xffe, v14, v0
	v_mul_f64_e32 v[0:1], s[8:9], v[7:8]
	v_sub_nc_u32_e32 v7, 0x3f1, v22
	s_wait_alu 0xfffd
	v_cndmask_b32_e32 v2, v17, v2, vcc_lo
	v_cmp_eq_u32_e32 vcc_lo, 0x40f, v20
	v_cvt_f32_f16_e32 v8, v15
	v_or_b32_e32 v17, 0x1000, v23
	v_med3_i32 v24, v7, 0, 13
	v_and_b32_e32 v20, 7, v2
	s_wait_alu 0xfffd
	v_cndmask_b32_e32 v18, v18, v21, vcc_lo
	v_add_co_u32 v14, vcc_lo, v5, s4
	v_cvt_f64_f32_e32 v[7:8], v8
	v_lshrrev_b32_e32 v21, v24, v17
	s_wait_alu 0xfffd
	v_add_co_ci_u32_e32 v15, vcc_lo, s5, v6, vcc_lo
	v_cmp_lt_i32_e32 vcc_lo, 5, v20
	v_cmp_eq_u32_e64 s0, 3, v20
	v_lshrrev_b32_e32 v2, 2, v2
	v_lshlrev_b32_e32 v24, v24, v21
	v_and_or_b32 v18, 0x8000, v9, v18
	v_add_nc_u32_e32 v20, 0xfffffc10, v22
	s_or_b32 vcc_lo, s0, vcc_lo
	v_mul_f64_e32 v[9:10], s[8:9], v[10:11]
	s_wait_alu 0xfffe
	v_add_co_ci_u32_e32 v2, vcc_lo, 0, v2, vcc_lo
	v_cmp_ne_u32_e64 s1, v24, v17
	v_cmp_ne_u32_e32 vcc_lo, 0, v12
	s_wait_alu 0xf1ff
	s_delay_alu instid0(VALU_DEP_2) | instskip(SKIP_3) | instid1(VALU_DEP_3)
	v_cndmask_b32_e64 v17, 0, 1, s1
	s_wait_alu 0xfffd
	v_cndmask_b32_e64 v11, 0, 1, vcc_lo
	v_cmp_gt_i32_e32 vcc_lo, 31, v19
	v_or_b32_e32 v12, v21, v17
	v_lshl_or_b32 v17, v20, 12, v23
	s_wait_alu 0xfffd
	v_cndmask_b32_e32 v2, 0x7c00, v2, vcc_lo
	v_cmp_gt_i32_e32 vcc_lo, 1, v20
	v_lshl_or_b32 v11, v11, 9, 0x7c00
	v_and_or_b32 v0, 0x1ff, v1, v0
	s_wait_alu 0xfffd
	v_cndmask_b32_e32 v12, v17, v12, vcc_lo
	v_cmp_eq_u32_e32 vcc_lo, 0x40f, v19
	v_lshrrev_b32_e32 v17, 8, v1
	v_bfe_u32 v19, v1, 20, 11
	v_lshrrev_b32_e32 v1, 16, v1
	s_wait_alu 0xfffd
	v_cndmask_b32_e32 v2, v2, v11, vcc_lo
	v_lshrrev_b32_e32 v11, 16, v13
	v_cmp_ne_u32_e32 vcc_lo, 0, v0
	v_mul_f64_e32 v[7:8], s[8:9], v[7:8]
	s_delay_alu instid0(VALU_DEP_3)
	v_and_or_b32 v2, 0x8000, v11, v2
	v_and_b32_e32 v11, 0xffff, v18
	v_and_b32_e32 v13, 7, v12
	s_wait_alu 0xfffd
	v_cndmask_b32_e64 v0, 0, 1, vcc_lo
	v_and_or_b32 v9, 0x1ff, v10, v9
	v_lshl_or_b32 v11, v2, 16, v11
	v_cmp_lt_i32_e32 vcc_lo, 5, v13
	v_cmp_eq_u32_e64 s0, 3, v13
	v_lshrrev_b32_e32 v2, 2, v12
	v_and_or_b32 v0, 0xffe, v17, v0
	v_sub_nc_u32_e32 v17, 0x3f1, v19
	v_lshrrev_b32_e32 v21, 8, v10
	s_or_b32 vcc_lo, s0, vcc_lo
	v_bfe_u32 v22, v10, 20, 11
	s_wait_alu 0xfffe
	v_add_co_ci_u32_e32 v2, vcc_lo, 0, v2, vcc_lo
	v_or_b32_e32 v12, 0x1000, v0
	v_med3_i32 v13, v17, 0, 13
	v_cmp_ne_u32_e32 vcc_lo, 0, v23
	v_lshrrev_b32_e32 v10, 16, v10
	s_delay_alu instid0(VALU_DEP_3) | instskip(SKIP_3) | instid1(VALU_DEP_3)
	v_lshrrev_b32_e32 v18, v13, v12
	s_wait_alu 0xfffd
	v_cndmask_b32_e64 v17, 0, 1, vcc_lo
	v_cmp_gt_i32_e32 vcc_lo, 31, v20
	v_lshlrev_b32_e32 v13, v13, v18
	s_delay_alu instid0(VALU_DEP_3)
	v_lshl_or_b32 v17, v17, 9, 0x7c00
	s_wait_alu 0xfffd
	v_cndmask_b32_e32 v2, 0x7c00, v2, vcc_lo
	v_cmp_ne_u32_e32 vcc_lo, 0, v9
	v_and_or_b32 v7, 0x1ff, v8, v7
	s_wait_alu 0xfffd
	v_cndmask_b32_e64 v9, 0, 1, vcc_lo
	v_cmp_ne_u32_e32 vcc_lo, v13, v12
	v_add_nc_u32_e32 v13, 0xfffffc10, v19
	v_sub_nc_u32_e32 v19, 0x3f1, v22
	s_delay_alu instid0(VALU_DEP_4)
	v_and_or_b32 v9, 0xffe, v21, v9
	s_wait_alu 0xfffd
	v_cndmask_b32_e64 v12, 0, 1, vcc_lo
	v_cmp_eq_u32_e32 vcc_lo, 0x40f, v20
	v_med3_i32 v19, v19, 0, 13
	v_bfe_u32 v21, v8, 20, 11
	v_lshrrev_b32_e32 v20, 8, v8
	v_or_b32_e32 v12, v18, v12
	s_wait_alu 0xfffd
	v_cndmask_b32_e32 v2, v2, v17, vcc_lo
	v_lshl_or_b32 v17, v13, 12, v0
	v_or_b32_e32 v18, 0x1000, v9
	v_cmp_gt_i32_e32 vcc_lo, 1, v13
	s_delay_alu instid0(VALU_DEP_4)
	v_and_or_b32 v2, 0x8000, v3, v2
	s_wait_alu 0xfffd
	v_cndmask_b32_e32 v12, v17, v12, vcc_lo
	v_lshrrev_b32_e32 v17, v19, v18
	v_cmp_ne_u32_e32 vcc_lo, 0, v7
	v_and_b32_e32 v2, 0xffff, v2
	s_delay_alu instid0(VALU_DEP_4) | instskip(NEXT) | instid1(VALU_DEP_4)
	v_and_b32_e32 v23, 7, v12
	v_lshlrev_b32_e32 v19, v19, v17
	s_wait_alu 0xfffd
	v_cndmask_b32_e64 v7, 0, 1, vcc_lo
	v_lshrrev_b32_e32 v12, 2, v12
	v_cmp_lt_i32_e32 vcc_lo, 5, v23
	v_cmp_ne_u32_e64 s0, v19, v18
	s_delay_alu instid0(VALU_DEP_4)
	v_and_or_b32 v3, 0xffe, v20, v7
	v_sub_nc_u32_e32 v7, 0x3f1, v21
	v_add_nc_u32_e32 v20, 0xfffffc10, v22
	s_wait_alu 0xf1ff
	v_cndmask_b32_e64 v18, 0, 1, s0
	v_cmp_eq_u32_e64 s0, 3, v23
	v_or_b32_e32 v19, 0x1000, v3
	v_med3_i32 v7, v7, 0, 13
	v_lshl_or_b32 v22, v20, 12, v9
	v_or_b32_e32 v17, v17, v18
	s_or_b32 vcc_lo, s0, vcc_lo
	s_wait_alu 0xfffe
	v_add_co_ci_u32_e32 v12, vcc_lo, 0, v12, vcc_lo
	v_lshrrev_b32_e32 v18, v7, v19
	v_cmp_gt_i32_e32 vcc_lo, 1, v20
	s_delay_alu instid0(VALU_DEP_2)
	v_lshlrev_b32_e32 v7, v7, v18
	s_wait_alu 0xfffd
	v_cndmask_b32_e32 v17, v22, v17, vcc_lo
	v_cmp_ne_u32_e32 vcc_lo, 0, v0
	s_wait_alu 0xfffd
	v_cndmask_b32_e64 v0, 0, 1, vcc_lo
	v_cmp_ne_u32_e32 vcc_lo, v7, v19
	v_add_nc_u32_e32 v19, 0xfffffc10, v21
	v_and_b32_e32 v21, 7, v17
	s_delay_alu instid0(VALU_DEP_4)
	v_lshl_or_b32 v0, v0, 9, 0x7c00
	s_wait_alu 0xfffd
	v_cndmask_b32_e64 v7, 0, 1, vcc_lo
	v_cmp_gt_i32_e32 vcc_lo, 31, v13
	v_cmp_gt_i32_e64 s1, 1, v19
	v_cmp_eq_u32_e64 s0, 3, v21
	s_delay_alu instid0(VALU_DEP_4)
	v_or_b32_e32 v7, v18, v7
	v_lshl_or_b32 v18, v19, 12, v3
	s_wait_alu 0xfffd
	v_cndmask_b32_e32 v12, 0x7c00, v12, vcc_lo
	v_cmp_lt_i32_e32 vcc_lo, 5, v21
	s_wait_alu 0xf1ff
	v_cndmask_b32_e64 v7, v18, v7, s1
	v_cmp_eq_u32_e64 s1, 0x40f, v13
	s_or_b32 vcc_lo, s0, vcc_lo
	s_delay_alu instid0(VALU_DEP_2) | instskip(NEXT) | instid1(VALU_DEP_2)
	v_and_b32_e32 v13, 7, v7
	v_cndmask_b32_e64 v0, v12, v0, s1
	v_lshrrev_b32_e32 v12, 2, v17
	v_lshrrev_b32_e32 v7, 2, v7
	v_cmp_gt_i32_e64 s1, 31, v20
	v_cmp_eq_u32_e64 s0, 3, v13
	s_wait_alu 0xfffe
	v_add_co_ci_u32_e32 v12, vcc_lo, 0, v12, vcc_lo
	v_cmp_ne_u32_e32 vcc_lo, 0, v9
	s_wait_alu 0xf1ff
	s_delay_alu instid0(VALU_DEP_2) | instskip(SKIP_3) | instid1(VALU_DEP_2)
	v_cndmask_b32_e64 v12, 0x7c00, v12, s1
	s_wait_alu 0xfffd
	v_cndmask_b32_e64 v9, 0, 1, vcc_lo
	v_cmp_lt_i32_e32 vcc_lo, 5, v13
	v_lshl_or_b32 v9, v9, 9, 0x7c00
	s_or_b32 vcc_lo, s0, vcc_lo
	s_wait_alu 0xfffe
	v_add_co_ci_u32_e32 v7, vcc_lo, 0, v7, vcc_lo
	v_cmp_ne_u32_e32 vcc_lo, 0, v3
	s_wait_alu 0xfffd
	v_cndmask_b32_e64 v3, 0, 1, vcc_lo
	v_cmp_eq_u32_e32 vcc_lo, 0x40f, v20
	s_delay_alu instid0(VALU_DEP_2) | instskip(SKIP_4) | instid1(VALU_DEP_3)
	v_lshl_or_b32 v3, v3, 9, 0x7c00
	s_wait_alu 0xfffd
	v_cndmask_b32_e32 v9, v12, v9, vcc_lo
	v_cmp_gt_i32_e32 vcc_lo, 31, v19
	v_and_or_b32 v12, 0x8000, v1, v0
	v_and_or_b32 v9, 0x8000, v10, v9
	s_wait_alu 0xfffd
	v_cndmask_b32_e32 v7, 0x7c00, v7, vcc_lo
	v_cmp_eq_u32_e32 vcc_lo, 0x40f, v19
	v_lshl_or_b32 v10, v12, 16, v2
	s_wait_alu 0xfffd
	s_delay_alu instid0(VALU_DEP_3) | instskip(SKIP_4) | instid1(VALU_DEP_3)
	v_cndmask_b32_e32 v3, v7, v3, vcc_lo
	v_lshrrev_b32_e32 v7, 16, v8
	v_add_co_u32 v0, vcc_lo, v14, s2
	s_wait_alu 0xfffd
	v_add_co_ci_u32_e32 v1, vcc_lo, s3, v15, vcc_lo
	v_and_or_b32 v7, 0x8000, v7, v3
	v_and_b32_e32 v8, 0xffff, v9
	v_add_co_u32 v2, vcc_lo, v0, s4
	s_wait_alu 0xfffd
	v_add_co_ci_u32_e32 v3, vcc_lo, s5, v1, vcc_lo
	s_delay_alu instid0(VALU_DEP_3) | instskip(NEXT) | instid1(VALU_DEP_3)
	v_lshl_or_b32 v9, v7, 16, v8
	v_add_co_u32 v7, vcc_lo, v2, s2
	s_wait_alu 0xfffd
	s_delay_alu instid0(VALU_DEP_3)
	v_add_co_ci_u32_e32 v8, vcc_lo, s3, v3, vcc_lo
	s_clause 0x1
	global_store_b32 v[5:6], v16, off
	global_store_b32 v[14:15], v4, off
	;; [unrolled: 1-line block ×5, first 2 shown]
.LBB0_10:
	s_nop 0
	s_sendmsg sendmsg(MSG_DEALLOC_VGPRS)
	s_endpgm
	.section	.rodata,"a",@progbits
	.p2align	6, 0x0
	.amdhsa_kernel bluestein_single_back_len1408_dim1_half_op_CI_CI
		.amdhsa_group_segment_fixed_size 5632
		.amdhsa_private_segment_fixed_size 0
		.amdhsa_kernarg_size 104
		.amdhsa_user_sgpr_count 2
		.amdhsa_user_sgpr_dispatch_ptr 0
		.amdhsa_user_sgpr_queue_ptr 0
		.amdhsa_user_sgpr_kernarg_segment_ptr 1
		.amdhsa_user_sgpr_dispatch_id 0
		.amdhsa_user_sgpr_private_segment_size 0
		.amdhsa_wavefront_size32 1
		.amdhsa_uses_dynamic_stack 0
		.amdhsa_enable_private_segment 0
		.amdhsa_system_sgpr_workgroup_id_x 1
		.amdhsa_system_sgpr_workgroup_id_y 0
		.amdhsa_system_sgpr_workgroup_id_z 0
		.amdhsa_system_sgpr_workgroup_info 0
		.amdhsa_system_vgpr_workitem_id 0
		.amdhsa_next_free_vgpr 205
		.amdhsa_next_free_sgpr 20
		.amdhsa_reserve_vcc 1
		.amdhsa_float_round_mode_32 0
		.amdhsa_float_round_mode_16_64 0
		.amdhsa_float_denorm_mode_32 3
		.amdhsa_float_denorm_mode_16_64 3
		.amdhsa_fp16_overflow 0
		.amdhsa_workgroup_processor_mode 1
		.amdhsa_memory_ordered 1
		.amdhsa_forward_progress 0
		.amdhsa_round_robin_scheduling 0
		.amdhsa_exception_fp_ieee_invalid_op 0
		.amdhsa_exception_fp_denorm_src 0
		.amdhsa_exception_fp_ieee_div_zero 0
		.amdhsa_exception_fp_ieee_overflow 0
		.amdhsa_exception_fp_ieee_underflow 0
		.amdhsa_exception_fp_ieee_inexact 0
		.amdhsa_exception_int_div_zero 0
	.end_amdhsa_kernel
	.text
.Lfunc_end0:
	.size	bluestein_single_back_len1408_dim1_half_op_CI_CI, .Lfunc_end0-bluestein_single_back_len1408_dim1_half_op_CI_CI
                                        ; -- End function
	.section	.AMDGPU.csdata,"",@progbits
; Kernel info:
; codeLenInByte = 18908
; NumSgprs: 22
; NumVgprs: 205
; ScratchSize: 0
; MemoryBound: 0
; FloatMode: 240
; IeeeMode: 1
; LDSByteSize: 5632 bytes/workgroup (compile time only)
; SGPRBlocks: 2
; VGPRBlocks: 25
; NumSGPRsForWavesPerEU: 22
; NumVGPRsForWavesPerEU: 205
; Occupancy: 7
; WaveLimiterHint : 1
; COMPUTE_PGM_RSRC2:SCRATCH_EN: 0
; COMPUTE_PGM_RSRC2:USER_SGPR: 2
; COMPUTE_PGM_RSRC2:TRAP_HANDLER: 0
; COMPUTE_PGM_RSRC2:TGID_X_EN: 1
; COMPUTE_PGM_RSRC2:TGID_Y_EN: 0
; COMPUTE_PGM_RSRC2:TGID_Z_EN: 0
; COMPUTE_PGM_RSRC2:TIDIG_COMP_CNT: 0
	.text
	.p2alignl 7, 3214868480
	.fill 96, 4, 3214868480
	.type	__hip_cuid_d668374e96b49e43,@object ; @__hip_cuid_d668374e96b49e43
	.section	.bss,"aw",@nobits
	.globl	__hip_cuid_d668374e96b49e43
__hip_cuid_d668374e96b49e43:
	.byte	0                               ; 0x0
	.size	__hip_cuid_d668374e96b49e43, 1

	.ident	"AMD clang version 19.0.0git (https://github.com/RadeonOpenCompute/llvm-project roc-6.4.0 25133 c7fe45cf4b819c5991fe208aaa96edf142730f1d)"
	.section	".note.GNU-stack","",@progbits
	.addrsig
	.addrsig_sym __hip_cuid_d668374e96b49e43
	.amdgpu_metadata
---
amdhsa.kernels:
  - .args:
      - .actual_access:  read_only
        .address_space:  global
        .offset:         0
        .size:           8
        .value_kind:     global_buffer
      - .actual_access:  read_only
        .address_space:  global
        .offset:         8
        .size:           8
        .value_kind:     global_buffer
      - .actual_access:  read_only
        .address_space:  global
        .offset:         16
        .size:           8
        .value_kind:     global_buffer
      - .actual_access:  read_only
        .address_space:  global
        .offset:         24
        .size:           8
        .value_kind:     global_buffer
      - .actual_access:  read_only
        .address_space:  global
        .offset:         32
        .size:           8
        .value_kind:     global_buffer
      - .offset:         40
        .size:           8
        .value_kind:     by_value
      - .address_space:  global
        .offset:         48
        .size:           8
        .value_kind:     global_buffer
      - .address_space:  global
        .offset:         56
        .size:           8
        .value_kind:     global_buffer
      - .address_space:  global
        .offset:         64
        .size:           8
        .value_kind:     global_buffer
      - .address_space:  global
        .offset:         72
        .size:           8
        .value_kind:     global_buffer
      - .offset:         80
        .size:           4
        .value_kind:     by_value
      - .address_space:  global
        .offset:         88
        .size:           8
        .value_kind:     global_buffer
      - .address_space:  global
        .offset:         96
        .size:           8
        .value_kind:     global_buffer
    .group_segment_fixed_size: 5632
    .kernarg_segment_align: 8
    .kernarg_segment_size: 104
    .language:       OpenCL C
    .language_version:
      - 2
      - 0
    .max_flat_workgroup_size: 176
    .name:           bluestein_single_back_len1408_dim1_half_op_CI_CI
    .private_segment_fixed_size: 0
    .sgpr_count:     22
    .sgpr_spill_count: 0
    .symbol:         bluestein_single_back_len1408_dim1_half_op_CI_CI.kd
    .uniform_work_group_size: 1
    .uses_dynamic_stack: false
    .vgpr_count:     205
    .vgpr_spill_count: 0
    .wavefront_size: 32
    .workgroup_processor_mode: 1
amdhsa.target:   amdgcn-amd-amdhsa--gfx1201
amdhsa.version:
  - 1
  - 2
...

	.end_amdgpu_metadata
